;; amdgpu-corpus repo=ROCm/rocFFT kind=compiled arch=gfx950 opt=O3
	.text
	.amdgcn_target "amdgcn-amd-amdhsa--gfx950"
	.amdhsa_code_object_version 6
	.protected	bluestein_single_fwd_len1001_dim1_dp_op_CI_CI ; -- Begin function bluestein_single_fwd_len1001_dim1_dp_op_CI_CI
	.globl	bluestein_single_fwd_len1001_dim1_dp_op_CI_CI
	.p2align	8
	.type	bluestein_single_fwd_len1001_dim1_dp_op_CI_CI,@function
bluestein_single_fwd_len1001_dim1_dp_op_CI_CI: ; @bluestein_single_fwd_len1001_dim1_dp_op_CI_CI
; %bb.0:
	s_load_dwordx4 s[4:7], s[0:1], 0x28
	v_mul_u32_u24_e32 v1, 0x2d1, v0
	v_lshrrev_b32_e32 v1, 16, v1
	v_lshl_add_u32 v2, s2, 1, v1
	v_mov_b32_e32 v3, 0
	v_accvgpr_write_b32 a0, v2
	s_waitcnt lgkmcnt(0)
	v_cmp_gt_u64_e32 vcc, s[4:5], v[2:3]
	s_and_saveexec_b64 s[2:3], vcc
	s_cbranch_execz .LBB0_23
; %bb.1:
	v_mul_lo_u16_e32 v2, 0x5b, v1
	s_load_dwordx2 s[14:15], s[0:1], 0x0
	s_load_dwordx2 s[12:13], s[0:1], 0x38
	v_sub_u16_e32 v245, v0, v2
	v_and_b32_e32 v0, 1, v1
	v_mov_b32_e32 v1, 0x3e9
	v_cmp_eq_u32_e32 vcc, 1, v0
	v_lshlrev_b32_e32 v0, 4, v245
	s_movk_i32 s2, 0x4d
	v_cndmask_b32_e32 v244, 0, v1, vcc
	v_accvgpr_write_b32 a2, v0
	v_lshlrev_b32_e32 v0, 4, v244
	v_cmp_gt_u16_e64 s[4:5], s2, v245
	v_accvgpr_write_b32 a3, v0
	s_and_saveexec_b64 s[2:3], s[4:5]
	s_cbranch_execz .LBB0_3
; %bb.2:
	s_load_dwordx2 s[8:9], s[0:1], 0x18
	v_accvgpr_read_b32 v10, a0
	v_mov_b32_e32 v0, s6
	v_mov_b32_e32 v1, s7
	;; [unrolled: 1-line block ×3, first 2 shown]
	s_waitcnt lgkmcnt(0)
	s_load_dwordx4 s[8:11], s[8:9], 0x0
	v_accvgpr_read_b32 v110, a2
	v_mov_b32_e32 v111, 0
	v_lshl_add_u64 v[36:37], s[14:15], 0, v[110:111]
	s_waitcnt lgkmcnt(0)
	v_mad_u64_u32 v[2:3], s[6:7], s10, v10, 0
	v_mad_u64_u32 v[4:5], s[6:7], s8, v245, 0
	v_mov_b32_e32 v6, v3
	v_mov_b32_e32 v8, v5
	v_mad_u64_u32 v[6:7], s[6:7], s11, v10, v[6:7]
	v_mov_b32_e32 v3, v6
	v_mad_u64_u32 v[6:7], s[6:7], s9, v245, v[8:9]
	v_mov_b32_e32 v5, v6
	v_lshl_add_u64 v[0:1], v[2:3], 4, v[0:1]
	v_lshl_add_u64 v[8:9], v[4:5], 4, v[0:1]
	v_mad_u64_u32 v[24:25], s[6:7], s8, v100, v[8:9]
	s_mul_i32 s6, s9, 0x4d0
	global_load_dwordx4 v[0:3], v[8:9], off
	global_load_dwordx4 v[4:7], v110, s[14:15]
	v_add_u32_e32 v25, s6, v25
	v_mad_u64_u32 v[26:27], s[10:11], s8, v100, v[24:25]
	v_add_u32_e32 v27, s6, v27
	global_load_dwordx4 v[12:15], v[24:25], off
	global_load_dwordx4 v[8:11], v[26:27], off
	global_load_dwordx4 v[16:19], v110, s[14:15] offset:1232
	global_load_dwordx4 v[20:23], v110, s[14:15] offset:2464
	v_mad_u64_u32 v[38:39], s[10:11], s8, v100, v[26:27]
	v_add_u32_e32 v39, s6, v39
	v_mad_u64_u32 v[40:41], s[10:11], s8, v100, v[38:39]
	global_load_dwordx4 v[24:27], v110, s[14:15] offset:3696
	v_add_u32_e32 v41, s6, v41
	global_load_dwordx4 v[32:35], v[38:39], off
	global_load_dwordx4 v[28:31], v[40:41], off
	s_movk_i32 s7, 0x1000
	v_mad_u64_u32 v[50:51], s[10:11], s8, v100, v[40:41]
	v_add_co_u32_e32 v66, vcc, s7, v36
	v_add_u32_e32 v51, s6, v51
	s_nop 0
	v_addc_co_u32_e32 v67, vcc, 0, v37, vcc
	global_load_dwordx4 v[38:41], v[50:51], off
	global_load_dwordx4 v[42:45], v[66:67], off offset:832
	global_load_dwordx4 v[46:49], v[66:67], off offset:2064
	v_mad_u64_u32 v[54:55], s[10:11], s8, v100, v[50:51]
	v_add_u32_e32 v55, s6, v55
	v_mad_u64_u32 v[68:69], s[10:11], s8, v100, v[54:55]
	s_movk_i32 s7, 0x2000
	global_load_dwordx4 v[50:53], v[54:55], off
	v_add_u32_e32 v69, s6, v69
	v_add_co_u32_e32 v82, vcc, s7, v36
	global_load_dwordx4 v[54:57], v[68:69], off
	s_nop 0
	v_addc_co_u32_e32 v83, vcc, 0, v37, vcc
	global_load_dwordx4 v[58:61], v[66:67], off offset:3296
	global_load_dwordx4 v[62:65], v[82:83], off offset:432
	v_mad_u64_u32 v[70:71], s[10:11], s8, v100, v[68:69]
	v_add_u32_e32 v71, s6, v71
	v_mad_u64_u32 v[84:85], s[10:11], s8, v100, v[70:71]
	global_load_dwordx4 v[66:69], v[70:71], off
	v_add_u32_e32 v85, s6, v85
	global_load_dwordx4 v[70:73], v[84:85], off
	global_load_dwordx4 v[74:77], v[82:83], off offset:1664
	global_load_dwordx4 v[78:81], v[82:83], off offset:2896
	s_movk_i32 s7, 0x3000
	v_mad_u64_u32 v[90:91], s[10:11], s8, v100, v[84:85]
	v_add_co_u32_e32 v36, vcc, s7, v36
	v_add_u32_e32 v91, s6, v91
	s_nop 0
	v_addc_co_u32_e32 v37, vcc, 0, v37, vcc
	global_load_dwordx4 v[82:85], v[90:91], off
	global_load_dwordx4 v[86:89], v[36:37], off offset:32
	v_mad_u64_u32 v[98:99], s[10:11], s8, v100, v[90:91]
	v_add_u32_e32 v99, s6, v99
	global_load_dwordx4 v[90:93], v[98:99], off
	global_load_dwordx4 v[94:97], v[36:37], off offset:1264
	v_mad_u64_u32 v[106:107], s[8:9], s8, v100, v[98:99]
	v_add_u32_e32 v107, s6, v107
	global_load_dwordx4 v[98:101], v[106:107], off
	global_load_dwordx4 v[102:105], v[36:37], off offset:2496
	v_accvgpr_read_b32 v37, a3
	v_lshl_add_u32 v36, v245, 4, v37
	s_waitcnt vmcnt(24)
	v_mul_f64 v[106:107], v[2:3], v[6:7]
	v_fmac_f64_e32 v[106:107], v[0:1], v[4:5]
	v_mul_f64 v[0:1], v[0:1], v[6:7]
	v_fma_f64 v[108:109], v[2:3], v[4:5], -v[0:1]
	s_waitcnt vmcnt(21)
	v_mul_f64 v[0:1], v[14:15], v[18:19]
	v_mul_f64 v[2:3], v[12:13], v[18:19]
	v_fmac_f64_e32 v[0:1], v[12:13], v[16:17]
	v_add_u32_e32 v4, v37, v110
	v_fma_f64 v[2:3], v[14:15], v[16:17], -v[2:3]
	ds_write_b128 v36, v[106:109]
	ds_write_b128 v4, v[0:3] offset:1232
	s_waitcnt vmcnt(20)
	v_mul_f64 v[0:1], v[10:11], v[22:23]
	v_mul_f64 v[2:3], v[8:9], v[22:23]
	v_fmac_f64_e32 v[0:1], v[8:9], v[20:21]
	v_fma_f64 v[2:3], v[10:11], v[20:21], -v[2:3]
	ds_write_b128 v4, v[0:3] offset:2464
	s_waitcnt vmcnt(18)
	v_mul_f64 v[0:1], v[34:35], v[26:27]
	v_mul_f64 v[2:3], v[32:33], v[26:27]
	v_fmac_f64_e32 v[0:1], v[32:33], v[24:25]
	v_fma_f64 v[2:3], v[34:35], v[24:25], -v[2:3]
	;; [unrolled: 6-line block ×11, first 2 shown]
	ds_write_b128 v4, v[0:3] offset:14784
.LBB0_3:
	s_or_b64 exec, exec, s[2:3]
	s_waitcnt lgkmcnt(0)
	s_barrier
	s_waitcnt lgkmcnt(0)
                                        ; implicit-def: $vgpr0_vgpr1
                                        ; implicit-def: $vgpr4_vgpr5
                                        ; implicit-def: $vgpr8_vgpr9
                                        ; implicit-def: $vgpr12_vgpr13
                                        ; implicit-def: $vgpr16_vgpr17
                                        ; implicit-def: $vgpr20_vgpr21
                                        ; implicit-def: $vgpr24_vgpr25
                                        ; implicit-def: $vgpr28_vgpr29
                                        ; implicit-def: $vgpr32_vgpr33
                                        ; implicit-def: $vgpr36_vgpr37
                                        ; implicit-def: $vgpr40_vgpr41
                                        ; implicit-def: $vgpr44_vgpr45
                                        ; implicit-def: $vgpr68_vgpr69
	s_and_saveexec_b64 s[2:3], s[4:5]
	s_cbranch_execz .LBB0_5
; %bb.4:
	v_accvgpr_read_b32 v0, a2
	v_lshl_add_u32 v48, v244, 4, v0
	ds_read_b128 v[0:3], v48
	ds_read_b128 v[4:7], v48 offset:1232
	ds_read_b128 v[8:11], v48 offset:2464
	;; [unrolled: 1-line block ×12, first 2 shown]
.LBB0_5:
	s_or_b64 exec, exec, s[2:3]
	s_waitcnt lgkmcnt(0)
	v_add_f64 v[50:51], v[6:7], -v[70:71]
	s_mov_b32 s2, 0xe00740e9
	s_mov_b32 s7, 0xbfddbe06
	;; [unrolled: 1-line block ×4, first 2 shown]
	v_add_f64 v[96:97], v[4:5], v[68:69]
	v_add_f64 v[48:49], v[4:5], -v[68:69]
	s_mov_b32 s3, 0x3fec55a7
	v_mul_f64 v[80:81], v[50:51], s[6:7]
	s_mov_b32 s8, 0x1ea71119
	s_mov_b32 s25, 0xbfea55e2
	v_add_f64 v[78:79], v[10:11], -v[46:47]
	v_add_f64 v[98:99], v[6:7], v[70:71]
	v_mul_f64 v[82:83], v[48:49], s[6:7]
	v_fma_f64 v[52:53], s[2:3], v[96:97], v[80:81]
	s_mov_b32 s9, 0x3fe22d96
	s_mov_b32 s30, 0x66966769
	v_add_f64 v[104:105], v[8:9], v[44:45]
	v_add_f64 v[76:77], v[8:9], -v[44:45]
	v_mul_f64 v[84:85], v[78:79], s[24:25]
	v_add_f64 v[52:53], v[0:1], v[52:53]
	v_fma_f64 v[54:55], v[98:99], s[2:3], -v[82:83]
	s_mov_b32 s10, 0xebaa3ed8
	s_mov_b32 s31, 0xbfefc445
	v_add_f64 v[106:107], v[10:11], v[46:47]
	v_mul_f64 v[86:87], v[76:77], s[24:25]
	v_fma_f64 v[56:57], s[8:9], v[104:105], v[84:85]
	v_add_f64 v[198:199], v[14:15], -v[42:43]
	v_add_f64 v[54:55], v[2:3], v[54:55]
	s_mov_b32 s11, 0x3fbedb7d
	s_mov_b32 s22, 0x2ef20147
	v_add_f64 v[52:53], v[56:57], v[52:53]
	v_fma_f64 v[56:57], v[106:107], s[8:9], -v[86:87]
	v_add_f64 v[110:111], v[12:13], v[40:41]
	v_add_f64 v[196:197], v[12:13], -v[40:41]
	v_mul_f64 v[88:89], v[198:199], s[30:31]
	s_mov_b32 s20, 0xb2365da1
	s_mov_b32 s23, 0xbfedeba7
	v_add_f64 v[54:55], v[56:57], v[54:55]
	v_add_f64 v[112:113], v[14:15], v[42:43]
	v_mul_f64 v[90:91], v[196:197], s[30:31]
	v_fma_f64 v[56:57], s[10:11], v[110:111], v[88:89]
	v_add_f64 v[206:207], v[18:19], -v[38:39]
	s_mov_b32 s21, 0xbfd6b1d8
	s_mov_b32 s26, 0x24c2f84
	v_add_f64 v[52:53], v[56:57], v[52:53]
	v_fma_f64 v[56:57], v[112:113], s[10:11], -v[90:91]
	v_add_f64 v[116:117], v[16:17], v[36:37]
	v_add_f64 v[204:205], v[16:17], -v[36:37]
	v_mul_f64 v[92:93], v[206:207], s[22:23]
	s_mov_b32 s16, 0xd0032e0c
	s_mov_b32 s27, 0xbfe5384d
	v_add_f64 v[54:55], v[56:57], v[54:55]
	v_add_f64 v[118:119], v[18:19], v[38:39]
	v_mul_f64 v[94:95], v[204:205], s[22:23]
	v_fma_f64 v[56:57], s[20:21], v[116:117], v[92:93]
	v_add_f64 v[242:243], v[22:23], -v[34:35]
	;; [unrolled: 14-line block ×3, first 2 shown]
	s_mov_b32 s19, 0xbfef11f4
	v_add_f64 v[52:53], v[56:57], v[52:53]
	v_fma_f64 v[56:57], v[128:129], s[16:17], -v[102:103]
	v_add_f64 v[144:145], v[24:25], v[28:29]
	v_mul_f64 v[108:109], v[246:247], s[28:29]
	v_add_f64 v[248:249], v[24:25], -v[28:29]
	v_add_f64 v[54:55], v[56:57], v[54:55]
	v_fma_f64 v[56:57], s[18:19], v[144:145], v[108:109]
	v_add_f64 v[148:149], v[26:27], v[30:31]
	v_mul_f64 v[114:115], v[248:249], s[28:29]
	v_add_f64 v[52:53], v[56:57], v[52:53]
	v_fma_f64 v[56:57], v[148:149], s[18:19], -v[114:115]
	v_mul_f64 v[120:121], v[50:51], s[24:25]
	v_add_f64 v[54:55], v[56:57], v[54:55]
	v_fma_f64 v[56:57], s[8:9], v[96:97], v[120:121]
	v_mul_f64 v[122:123], v[78:79], s[22:23]
	v_add_f64 v[56:57], v[0:1], v[56:57]
	v_fma_f64 v[58:59], s[20:21], v[104:105], v[122:123]
	v_mul_f64 v[130:131], v[48:49], s[24:25]
	v_add_f64 v[56:57], v[58:59], v[56:57]
	v_fma_f64 v[58:59], v[98:99], s[8:9], -v[130:131]
	v_mul_f64 v[134:135], v[76:77], s[22:23]
	v_add_f64 v[58:59], v[2:3], v[58:59]
	v_fma_f64 v[60:61], v[106:107], s[20:21], -v[134:135]
	v_mul_f64 v[124:125], v[198:199], s[28:29]
	v_add_f64 v[58:59], v[60:61], v[58:59]
	v_fma_f64 v[60:61], s[18:19], v[110:111], v[124:125]
	v_mul_f64 v[136:137], v[196:197], s[28:29]
	s_mov_b32 s37, 0x3fe5384d
	s_mov_b32 s36, s26
	v_add_f64 v[56:57], v[60:61], v[56:57]
	v_fma_f64 v[60:61], v[112:113], s[18:19], -v[136:137]
	v_mul_f64 v[132:133], v[206:207], s[36:37]
	v_add_f64 v[58:59], v[60:61], v[58:59]
	v_fma_f64 v[60:61], s[16:17], v[116:117], v[132:133]
	v_mul_f64 v[140:141], v[204:205], s[36:37]
	s_mov_b32 s35, 0x3fefc445
	s_mov_b32 s34, s30
	v_add_f64 v[56:57], v[60:61], v[56:57]
	v_fma_f64 v[60:61], v[118:119], s[16:17], -v[140:141]
	v_mul_f64 v[138:139], v[242:243], s[34:35]
	v_add_f64 v[58:59], v[60:61], v[58:59]
	v_fma_f64 v[60:61], s[10:11], v[126:127], v[138:139]
	v_mul_f64 v[146:147], v[240:241], s[34:35]
	s_mov_b32 s7, 0x3fddbe06
	v_add_f64 v[56:57], v[60:61], v[56:57]
	v_fma_f64 v[60:61], v[128:129], s[10:11], -v[146:147]
	v_mul_f64 v[142:143], v[246:247], s[6:7]
	v_add_f64 v[58:59], v[60:61], v[58:59]
	v_fma_f64 v[60:61], s[2:3], v[144:145], v[142:143]
	v_mul_f64 v[150:151], v[248:249], s[6:7]
	v_add_f64 v[56:57], v[60:61], v[56:57]
	v_fma_f64 v[60:61], v[148:149], s[2:3], -v[150:151]
	v_mul_f64 v[152:153], v[50:51], s[30:31]
	v_add_f64 v[58:59], v[60:61], v[58:59]
	v_fma_f64 v[60:61], s[10:11], v[96:97], v[152:153]
	v_mul_f64 v[154:155], v[78:79], s[28:29]
	v_add_f64 v[60:61], v[0:1], v[60:61]
	v_fma_f64 v[62:63], s[18:19], v[104:105], v[154:155]
	v_mul_f64 v[158:159], v[48:49], s[30:31]
	v_add_f64 v[60:61], v[62:63], v[60:61]
	v_fma_f64 v[62:63], v[98:99], s[10:11], -v[158:159]
	v_mul_f64 v[162:163], v[76:77], s[28:29]
	s_mov_b32 s39, 0x3fedeba7
	s_mov_b32 s38, s22
	v_add_f64 v[62:63], v[2:3], v[62:63]
	v_fma_f64 v[64:65], v[106:107], s[18:19], -v[162:163]
	v_mul_f64 v[156:157], v[198:199], s[38:39]
	v_add_f64 v[62:63], v[64:65], v[62:63]
	v_fma_f64 v[64:65], s[20:21], v[110:111], v[156:157]
	v_mul_f64 v[166:167], v[196:197], s[38:39]
	v_add_f64 v[60:61], v[64:65], v[60:61]
	v_fma_f64 v[64:65], v[112:113], s[20:21], -v[166:167]
	v_mul_f64 v[160:161], v[206:207], s[6:7]
	v_add_f64 v[62:63], v[64:65], v[62:63]
	v_fma_f64 v[64:65], s[2:3], v[116:117], v[160:161]
	v_mul_f64 v[170:171], v[204:205], s[6:7]
	;; [unrolled: 6-line block ×5, first 2 shown]
	v_add_f64 v[64:65], v[0:1], v[64:65]
	v_fma_f64 v[66:67], s[16:17], v[104:105], v[178:179]
	v_mul_f64 v[186:187], v[48:49], s[22:23]
	v_add_f64 v[64:65], v[66:67], v[64:65]
	v_fma_f64 v[66:67], v[98:99], s[20:21], -v[186:187]
	v_mul_f64 v[188:189], v[76:77], s[36:37]
	v_add_f64 v[66:67], v[2:3], v[66:67]
	v_fma_f64 v[72:73], v[106:107], s[16:17], -v[188:189]
	v_mul_f64 v[180:181], v[198:199], s[6:7]
	v_add_f64 v[66:67], v[72:73], v[66:67]
	v_fma_f64 v[72:73], s[2:3], v[110:111], v[180:181]
	v_mul_f64 v[192:193], v[196:197], s[6:7]
	v_add_f64 v[64:65], v[72:73], v[64:65]
	v_fma_f64 v[72:73], v[112:113], s[2:3], -v[192:193]
	v_mul_f64 v[182:183], v[206:207], s[30:31]
	v_add_f64 v[66:67], v[72:73], v[66:67]
	v_fma_f64 v[72:73], s[10:11], v[116:117], v[182:183]
	v_mul_f64 v[194:195], v[204:205], s[30:31]
	s_mov_b32 s31, 0x3fcea1e5
	s_mov_b32 s30, s28
	v_add_f64 v[64:65], v[72:73], v[64:65]
	v_fma_f64 v[72:73], v[118:119], s[10:11], -v[194:195]
	v_mul_f64 v[184:185], v[242:243], s[30:31]
	v_add_f64 v[66:67], v[72:73], v[66:67]
	v_fma_f64 v[72:73], s[18:19], v[126:127], v[184:185]
	v_mul_f64 v[200:201], v[240:241], s[30:31]
	s_mov_b32 s37, 0x3fea55e2
	s_mov_b32 s36, s24
	v_add_f64 v[64:65], v[72:73], v[64:65]
	v_fma_f64 v[72:73], v[128:129], s[18:19], -v[200:201]
	v_mul_f64 v[190:191], v[246:247], s[36:37]
	v_add_f64 v[66:67], v[72:73], v[66:67]
	v_fma_f64 v[72:73], s[8:9], v[144:145], v[190:191]
	v_mul_f64 v[202:203], v[248:249], s[36:37]
	v_add_f64 v[64:65], v[72:73], v[64:65]
	v_fma_f64 v[72:73], v[148:149], s[8:9], -v[202:203]
	v_mul_f64 v[208:209], v[50:51], s[26:27]
	v_add_f64 v[66:67], v[72:73], v[66:67]
	v_fma_f64 v[72:73], s[16:17], v[96:97], v[208:209]
	v_mul_f64 v[210:211], v[78:79], s[34:35]
	v_add_f64 v[72:73], v[0:1], v[72:73]
	v_fma_f64 v[74:75], s[10:11], v[104:105], v[210:211]
	v_mul_f64 v[218:219], v[48:49], s[26:27]
	v_add_f64 v[72:73], v[74:75], v[72:73]
	v_fma_f64 v[74:75], v[98:99], s[16:17], -v[218:219]
	v_mul_f64 v[222:223], v[76:77], s[34:35]
	v_add_f64 v[74:75], v[2:3], v[74:75]
	v_fma_f64 v[212:213], v[106:107], s[10:11], -v[222:223]
	v_add_f64 v[74:75], v[212:213], v[74:75]
	v_mul_f64 v[212:213], v[198:199], s[24:25]
	v_fma_f64 v[214:215], s[8:9], v[110:111], v[212:213]
	v_mul_f64 v[224:225], v[196:197], s[24:25]
	v_add_f64 v[72:73], v[214:215], v[72:73]
	v_fma_f64 v[214:215], v[112:113], s[8:9], -v[224:225]
	v_add_f64 v[74:75], v[214:215], v[74:75]
	v_mul_f64 v[214:215], v[206:207], s[30:31]
	v_fma_f64 v[216:217], s[18:19], v[116:117], v[214:215]
	;; [unrolled: 6-line block ×4, first 2 shown]
	v_add_f64 v[72:73], v[230:231], v[72:73]
	v_mul_f64 v[230:231], v[248:249], s[22:23]
	v_fma_f64 v[232:233], v[148:149], s[20:21], -v[230:231]
	v_add_f64 v[74:75], v[232:233], v[74:75]
	v_mul_f64 v[232:233], v[50:51], s[28:29]
	v_fma_f64 v[50:51], s[18:19], v[96:97], v[232:233]
	v_mul_f64 v[78:79], v[78:79], s[6:7]
	v_add_f64 v[50:51], v[0:1], v[50:51]
	v_fma_f64 v[234:235], s[2:3], v[104:105], v[78:79]
	v_add_f64 v[50:51], v[234:235], v[50:51]
	v_mul_f64 v[234:235], v[48:49], s[28:29]
	v_fma_f64 v[48:49], v[98:99], s[18:19], -v[234:235]
	v_mul_f64 v[236:237], v[76:77], s[6:7]
	v_add_f64 v[48:49], v[2:3], v[48:49]
	v_fma_f64 v[76:77], v[106:107], s[2:3], -v[236:237]
	v_add_f64 v[48:49], v[76:77], v[48:49]
	v_mul_f64 v[76:77], v[198:199], s[26:27]
	v_fma_f64 v[198:199], s[16:17], v[110:111], v[76:77]
	v_mul_f64 v[196:197], v[196:197], s[26:27]
	v_add_f64 v[50:51], v[198:199], v[50:51]
	v_fma_f64 v[198:199], v[112:113], s[16:17], -v[196:197]
	v_mul_f64 v[238:239], v[204:205], s[36:37]
	v_add_f64 v[48:49], v[198:199], v[48:49]
	v_mul_f64 v[198:199], v[206:207], s[36:37]
	v_fma_f64 v[204:205], v[118:119], s[8:9], -v[238:239]
	v_fma_f64 v[206:207], s[8:9], v[116:117], v[198:199]
	v_add_f64 v[48:49], v[204:205], v[48:49]
	v_mul_f64 v[204:205], v[242:243], s[22:23]
	v_add_f64 v[50:51], v[206:207], v[50:51]
	v_fma_f64 v[206:207], s[20:21], v[126:127], v[204:205]
	v_mul_f64 v[240:241], v[240:241], s[22:23]
	v_add_f64 v[50:51], v[206:207], v[50:51]
	v_fma_f64 v[206:207], v[128:129], s[20:21], -v[240:241]
	s_load_dwordx2 s[6:7], s[0:1], 0x20
	s_nop 0
	s_load_dwordx2 s[0:1], s[0:1], 0x8
	v_add_f64 v[250:251], v[206:207], v[48:49]
	v_mul_f64 v[206:207], v[246:247], s[34:35]
	v_mul_f64 v[242:243], v[248:249], s[34:35]
	v_fma_f64 v[48:49], s[10:11], v[144:145], v[206:207]
	v_add_f64 v[48:49], v[48:49], v[50:51]
	v_fma_f64 v[50:51], v[148:149], s[10:11], -v[242:243]
	v_mul_lo_u16_e32 v246, 13, v245
	v_add_f64 v[50:51], v[50:51], v[250:251]
	v_accvgpr_write_b32 a4, v246
	s_waitcnt lgkmcnt(0)
	s_barrier
	s_and_saveexec_b64 s[22:23], s[4:5]
	s_cbranch_execz .LBB0_7
; %bb.6:
	v_mul_f64 v[246:247], v[148:149], s[10:11]
	v_add_f64 v[242:243], v[242:243], v[246:247]
	v_mul_f64 v[246:247], v[128:129], s[20:21]
	v_add_f64 v[240:241], v[240:241], v[246:247]
	;; [unrolled: 2-line block ×6, first 2 shown]
	v_add_f64 v[234:235], v[2:3], v[234:235]
	v_add_f64 v[234:235], v[236:237], v[234:235]
	;; [unrolled: 1-line block ×4, first 2 shown]
	v_mul_f64 v[238:239], v[144:145], s[10:11]
	v_add_f64 v[206:207], v[238:239], -v[206:207]
	v_mul_f64 v[238:239], v[126:127], s[20:21]
	v_add_f64 v[204:205], v[238:239], -v[204:205]
	;; [unrolled: 2-line block ×6, first 2 shown]
	v_add_f64 v[232:233], v[0:1], v[232:233]
	v_add_f64 v[234:235], v[240:241], v[234:235]
	;; [unrolled: 1-line block ×5, first 2 shown]
	v_mul_f64 v[234:235], v[148:149], s[20:21]
	v_add_f64 v[76:77], v[198:199], v[76:77]
	v_add_f64 v[230:231], v[230:231], v[234:235]
	v_mul_f64 v[234:235], v[128:129], s[2:3]
	v_add_f64 v[76:77], v[204:205], v[76:77]
	v_add_f64 v[228:229], v[228:229], v[234:235]
	v_mul_f64 v[234:235], v[118:119], s[18:19]
	v_mul_f64 v[236:237], v[98:99], s[2:3]
	;; [unrolled: 1-line block ×4, first 2 shown]
	v_add_f64 v[76:77], v[206:207], v[76:77]
	v_mul_f64 v[206:207], v[98:99], s[20:21]
	v_mul_f64 v[98:99], v[98:99], s[16:17]
	v_add_f64 v[226:227], v[226:227], v[234:235]
	v_mul_f64 v[234:235], v[112:113], s[8:9]
	v_add_f64 v[224:225], v[224:225], v[234:235]
	;; [unrolled: 2-line block ×3, first 2 shown]
	v_add_f64 v[222:223], v[222:223], v[234:235]
	v_add_f64 v[98:99], v[2:3], v[98:99]
	;; [unrolled: 1-line block ×6, first 2 shown]
	v_mul_f64 v[228:229], v[144:145], s[20:21]
	v_add_f64 v[220:221], v[228:229], -v[220:221]
	v_mul_f64 v[228:229], v[126:127], s[2:3]
	v_add_f64 v[216:217], v[228:229], -v[216:217]
	v_mul_f64 v[228:229], v[116:117], s[18:19]
	v_mul_f64 v[196:197], v[96:97], s[2:3]
	;; [unrolled: 1-line block ×6, first 2 shown]
	v_add_f64 v[214:215], v[228:229], -v[214:215]
	v_mul_f64 v[228:229], v[110:111], s[8:9]
	v_add_f64 v[212:213], v[228:229], -v[212:213]
	v_mul_f64 v[228:229], v[104:105], s[10:11]
	v_add_f64 v[96:97], v[96:97], -v[208:209]
	v_add_f64 v[210:211], v[228:229], -v[210:211]
	v_add_f64 v[96:97], v[0:1], v[96:97]
	v_add_f64 v[96:97], v[210:211], v[96:97]
	;; [unrolled: 1-line block ×4, first 2 shown]
	v_mul_f64 v[218:219], v[106:107], s[8:9]
	v_mul_f64 v[224:225], v[106:107], s[20:21]
	;; [unrolled: 1-line block ×4, first 2 shown]
	v_add_f64 v[96:97], v[216:217], v[96:97]
	v_add_f64 v[98:99], v[230:231], v[98:99]
	v_mul_f64 v[230:231], v[148:149], s[8:9]
	v_add_f64 v[186:187], v[186:187], v[206:207]
	v_mul_f64 v[234:235], v[104:105], s[8:9]
	v_mul_f64 v[222:223], v[104:105], s[20:21]
	;; [unrolled: 1-line block ×6, first 2 shown]
	v_add_f64 v[96:97], v[220:221], v[96:97]
	v_mul_f64 v[220:221], v[112:113], s[20:21]
	v_mul_f64 v[112:113], v[112:113], s[2:3]
	v_add_f64 v[202:203], v[202:203], v[230:231]
	v_mul_f64 v[230:231], v[128:129], s[18:19]
	v_add_f64 v[106:107], v[188:189], v[106:107]
	v_add_f64 v[186:187], v[2:3], v[186:187]
	v_add_f64 v[176:177], v[204:205], -v[176:177]
	v_mul_f64 v[208:209], v[110:111], s[10:11]
	v_mul_f64 v[212:213], v[110:111], s[18:19]
	;; [unrolled: 1-line block ×4, first 2 shown]
	v_add_f64 v[200:201], v[200:201], v[230:231]
	v_mul_f64 v[230:231], v[118:119], s[10:11]
	v_add_f64 v[112:113], v[192:193], v[112:113]
	v_add_f64 v[106:107], v[106:107], v[186:187]
	v_add_f64 v[104:105], v[104:105], -v[178:179]
	v_add_f64 v[176:177], v[0:1], v[176:177]
	v_add_f64 v[194:195], v[194:195], v[230:231]
	v_mul_f64 v[230:231], v[116:117], s[20:21]
	v_mul_f64 v[188:189], v[116:117], s[16:17]
	;; [unrolled: 1-line block ×4, first 2 shown]
	v_add_f64 v[106:107], v[112:113], v[106:107]
	v_mul_f64 v[112:113], v[144:145], s[8:9]
	v_add_f64 v[110:111], v[110:111], -v[180:181]
	v_add_f64 v[104:105], v[104:105], v[176:177]
	v_add_f64 v[112:113], v[112:113], -v[190:191]
	v_mul_f64 v[190:191], v[126:127], s[18:19]
	v_add_f64 v[116:117], v[116:117], -v[182:183]
	v_add_f64 v[104:105], v[110:111], v[104:105]
	v_add_f64 v[184:185], v[190:191], -v[184:185]
	v_mul_f64 v[178:179], v[148:149], s[18:19]
	v_mul_f64 v[176:177], v[148:149], s[2:3]
	;; [unrolled: 1-line block ×3, first 2 shown]
	v_add_f64 v[104:105], v[116:117], v[104:105]
	v_add_f64 v[106:107], v[194:195], v[106:107]
	v_mul_f64 v[194:195], v[128:129], s[16:17]
	v_mul_f64 v[182:183], v[128:129], s[10:11]
	v_mul_f64 v[128:129], v[128:129], s[8:9]
	v_add_f64 v[104:105], v[184:185], v[104:105]
	v_add_f64 v[110:111], v[174:175], v[148:149]
	;; [unrolled: 1-line block ×3, first 2 shown]
	v_mul_f64 v[192:193], v[118:119], s[20:21]
	v_mul_f64 v[206:207], v[118:119], s[16:17]
	;; [unrolled: 1-line block ×3, first 2 shown]
	v_add_f64 v[104:105], v[112:113], v[104:105]
	v_add_f64 v[112:113], v[172:173], v[128:129]
	;; [unrolled: 1-line block ×10, first 2 shown]
	v_mul_f64 v[180:181], v[144:145], s[18:19]
	v_mul_f64 v[200:201], v[144:145], s[2:3]
	;; [unrolled: 1-line block ×3, first 2 shown]
	v_add_f64 v[112:113], v[112:113], v[116:117]
	v_add_f64 v[112:113], v[110:111], v[112:113]
	v_add_f64 v[110:111], v[144:145], -v[168:169]
	v_add_f64 v[144:145], v[240:241], -v[152:153]
	v_add_f64 v[130:131], v[130:131], v[232:233]
	v_add_f64 v[120:121], v[238:239], -v[120:121]
	v_add_f64 v[82:83], v[82:83], v[236:237]
	;; [unrolled: 2-line block ×3, first 2 shown]
	v_add_f64 v[130:131], v[2:3], v[130:131]
	v_add_f64 v[120:121], v[0:1], v[120:121]
	;; [unrolled: 1-line block ×14, first 2 shown]
	v_mul_f64 v[242:243], v[126:127], s[16:17]
	v_mul_f64 v[190:191], v[126:127], s[10:11]
	;; [unrolled: 1-line block ×3, first 2 shown]
	v_add_f64 v[128:129], v[226:227], -v[154:155]
	v_add_f64 v[2:3], v[2:3], v[26:27]
	v_add_f64 v[0:1], v[0:1], v[24:25]
	v_add_f64 v[116:117], v[126:127], -v[164:165]
	v_add_f64 v[126:127], v[216:217], -v[156:157]
	v_add_f64 v[128:129], v[128:129], v[144:145]
	v_add_f64 v[134:135], v[134:135], v[224:225]
	;; [unrolled: 1-line block ×4, first 2 shown]
	v_add_f64 v[118:119], v[186:187], -v[160:161]
	v_add_f64 v[126:127], v[126:127], v[128:129]
	v_add_f64 v[128:129], v[136:137], v[214:215]
	;; [unrolled: 1-line block ×3, first 2 shown]
	v_add_f64 v[122:123], v[222:223], -v[122:123]
	v_add_f64 v[86:87], v[86:87], v[218:219]
	v_add_f64 v[84:85], v[234:235], -v[84:85]
	v_add_f64 v[2:3], v[2:3], v[34:35]
	v_add_f64 v[0:1], v[0:1], v[32:33]
	v_add_f64 v[118:119], v[118:119], v[126:127]
	v_add_f64 v[126:127], v[140:141], v[206:207]
	v_add_f64 v[128:129], v[128:129], v[130:131]
	v_add_f64 v[124:125], v[212:213], -v[124:125]
	v_add_f64 v[120:121], v[122:123], v[120:121]
	v_add_f64 v[90:91], v[90:91], v[210:211]
	v_add_f64 v[82:83], v[86:87], v[82:83]
	v_add_f64 v[88:89], v[208:209], -v[88:89]
	v_add_f64 v[80:81], v[84:85], v[80:81]
	v_add_f64 v[2:3], v[2:3], v[38:39]
	v_add_f64 v[0:1], v[0:1], v[36:37]
	v_add_f64 v[116:117], v[116:117], v[118:119]
	v_add_f64 v[118:119], v[146:147], v[182:183]
	v_add_f64 v[126:127], v[126:127], v[128:129]
	v_add_f64 v[128:129], v[188:189], -v[132:133]
	v_add_f64 v[120:121], v[124:125], v[120:121]
	v_add_f64 v[94:95], v[94:95], v[192:193]
	v_add_f64 v[82:83], v[90:91], v[82:83]
	v_add_f64 v[92:93], v[230:231], -v[92:93]
	v_add_f64 v[80:81], v[88:89], v[80:81]
	;; [unrolled: 11-line block ×3, first 2 shown]
	v_add_f64 v[2:3], v[2:3], v[46:47]
	v_add_f64 v[0:1], v[0:1], v[44:45]
	v_accvgpr_read_b32 v4, a4
	v_add_f64 v[118:119], v[116:117], v[118:119]
	v_add_f64 v[116:117], v[200:201], -v[142:143]
	v_add_f64 v[120:121], v[126:127], v[120:121]
	v_add_f64 v[114:115], v[114:115], v[178:179]
	v_add_f64 v[82:83], v[102:103], v[82:83]
	v_add_f64 v[86:87], v[180:181], -v[108:109]
	v_add_f64 v[80:81], v[90:91], v[80:81]
	v_add_f64 v[2:3], v[2:3], v[70:71]
	;; [unrolled: 1-line block ×3, first 2 shown]
	v_add_lshl_u32 v4, v244, v4, 4
	v_add_f64 v[106:107], v[202:203], v[106:107]
	v_add_f64 v[116:117], v[116:117], v[120:121]
	;; [unrolled: 1-line block ×4, first 2 shown]
	ds_write_b128 v4, v[0:3]
	ds_write_b128 v4, v[80:83] offset:16
	ds_write_b128 v4, v[116:119] offset:32
	;; [unrolled: 1-line block ×12, first 2 shown]
.LBB0_7:
	s_or_b64 exec, exec, s[22:23]
	v_add_lshl_u32 v232, v244, v245, 4
	s_waitcnt lgkmcnt(0)
	s_barrier
	ds_read_b128 v[68:71], v232
	ds_read_b128 v[96:99], v232 offset:2288
	ds_read_b128 v[92:95], v232 offset:4576
	;; [unrolled: 1-line block ×6, first 2 shown]
	v_cmp_gt_u16_e64 s[2:3], 52, v245
                                        ; implicit-def: $vgpr100_vgpr101
	s_and_saveexec_b64 s[8:9], s[2:3]
	s_cbranch_execz .LBB0_9
; %bb.8:
	ds_read_b128 v[48:51], v232 offset:1456
	ds_read_b128 v[72:75], v232 offset:3744
	;; [unrolled: 1-line block ×7, first 2 shown]
.LBB0_9:
	s_or_b64 exec, exec, s[8:9]
	s_movk_i32 s8, 0x4f
	v_mul_lo_u16_sdwa v0, v245, s8 dst_sel:DWORD dst_unused:UNUSED_PAD src0_sel:BYTE_0 src1_sel:DWORD
	v_lshrrev_b16_e32 v128, 10, v0
	v_mul_lo_u16_e32 v0, 13, v128
	v_sub_u16_e32 v129, v245, v0
	v_mov_b32_e32 v0, 6
	v_mul_u32_u24_sdwa v1, v129, v0 dst_sel:DWORD dst_unused:UNUSED_PAD src0_sel:BYTE_0 src1_sel:DWORD
	v_lshlrev_b32_e32 v1, 4, v1
	global_load_dwordx4 v[28:31], v1, s[0:1] offset:16
	global_load_dwordx4 v[36:39], v1, s[0:1]
	global_load_dwordx4 v[24:27], v1, s[0:1] offset:48
	global_load_dwordx4 v[32:35], v1, s[0:1] offset:32
	;; [unrolled: 1-line block ×4, first 2 shown]
	v_add_u16_e32 v1, 0x5b, v245
	v_mul_lo_u16_sdwa v2, v1, s8 dst_sel:DWORD dst_unused:UNUSED_PAD src0_sel:BYTE_0 src1_sel:DWORD
	v_lshrrev_b16_e32 v242, 10, v2
	v_mul_lo_u16_e32 v2, 13, v242
	v_sub_u16_e32 v243, v1, v2
	v_mul_u32_u24_sdwa v0, v243, v0 dst_sel:DWORD dst_unused:UNUSED_PAD src0_sel:BYTE_0 src1_sel:DWORD
	v_lshlrev_b32_e32 v0, 4, v0
	global_load_dwordx4 v[142:145], v0, s[0:1]
	global_load_dwordx4 v[138:141], v0, s[0:1] offset:16
	global_load_dwordx4 v[134:137], v0, s[0:1] offset:32
	;; [unrolled: 1-line block ×5, first 2 shown]
	s_load_dwordx4 s[8:11], s[6:7], 0x0
	s_mov_b32 s16, 0x37e14327
	s_mov_b32 s6, 0x36b3c0b5
	;; [unrolled: 1-line block ×20, first 2 shown]
	s_waitcnt lgkmcnt(0)
	s_barrier
	s_waitcnt vmcnt(11)
	v_mul_f64 v[4:5], v[94:95], v[30:31]
	s_waitcnt vmcnt(10)
	v_mul_f64 v[0:1], v[98:99], v[38:39]
	v_mul_f64 v[2:3], v[96:97], v[38:39]
	;; [unrolled: 1-line block ×3, first 2 shown]
	s_waitcnt vmcnt(7)
	v_mul_f64 v[20:21], v[78:79], v[42:43]
	s_waitcnt vmcnt(6)
	v_mul_f64 v[16:17], v[82:83], v[46:47]
	v_mul_f64 v[8:9], v[90:91], v[34:35]
	v_mul_f64 v[12:13], v[86:87], v[26:27]
	v_mul_f64 v[18:19], v[80:81], v[46:47]
	v_mul_f64 v[22:23], v[76:77], v[42:43]
	v_fma_f64 v[0:1], v[96:97], v[36:37], -v[0:1]
	v_fma_f64 v[4:5], v[92:93], v[28:29], -v[4:5]
	s_waitcnt vmcnt(1)
	v_mul_f64 v[120:121], v[54:55], v[148:149]
	v_fma_f64 v[16:17], v[80:81], v[44:45], -v[16:17]
	v_fma_f64 v[20:21], v[76:77], v[40:41], -v[20:21]
	v_mul_f64 v[10:11], v[88:89], v[34:35]
	v_mul_f64 v[14:15], v[84:85], v[26:27]
	;; [unrolled: 1-line block ×3, first 2 shown]
	v_fmac_f64_e32 v[2:3], v[98:99], v[36:37]
	v_fmac_f64_e32 v[6:7], v[94:95], v[28:29]
	v_fma_f64 v[8:9], v[88:89], v[32:33], -v[8:9]
	v_fma_f64 v[12:13], v[84:85], v[24:25], -v[12:13]
	v_fmac_f64_e32 v[18:19], v[82:83], v[44:45]
	v_fmac_f64_e32 v[22:23], v[78:79], v[40:41]
	v_fma_f64 v[88:89], v[52:53], v[146:147], -v[120:121]
	v_add_f64 v[52:53], v[0:1], v[20:21]
	v_add_f64 v[0:1], v[0:1], -v[20:21]
	v_add_f64 v[20:21], v[4:5], v[16:17]
	v_mul_f64 v[112:113], v[62:63], v[136:137]
	v_mul_f64 v[116:117], v[58:59], v[132:133]
	v_fmac_f64_e32 v[10:11], v[90:91], v[32:33]
	v_fmac_f64_e32 v[14:15], v[86:87], v[24:25]
	;; [unrolled: 1-line block ×3, first 2 shown]
	v_add_f64 v[54:55], v[2:3], v[22:23]
	v_add_f64 v[2:3], v[2:3], -v[22:23]
	v_add_f64 v[22:23], v[6:7], v[18:19]
	v_add_f64 v[4:5], v[4:5], -v[16:17]
	;; [unrolled: 2-line block ×3, first 2 shown]
	v_add_f64 v[12:13], v[20:21], v[52:53]
	v_mul_f64 v[108:109], v[66:67], v[140:141]
	v_mul_f64 v[114:115], v[60:61], v[136:137]
	;; [unrolled: 1-line block ×3, first 2 shown]
	v_fma_f64 v[84:85], v[60:61], v[134:135], -v[112:113]
	v_fma_f64 v[86:87], v[56:57], v[130:131], -v[116:117]
	v_add_f64 v[6:7], v[6:7], -v[18:19]
	v_add_f64 v[18:19], v[10:11], v[14:15]
	v_add_f64 v[10:11], v[14:15], -v[10:11]
	v_add_f64 v[14:15], v[22:23], v[54:55]
	v_add_f64 v[56:57], v[20:21], -v[52:53]
	v_add_f64 v[60:61], v[52:53], -v[16:17]
	v_add_f64 v[52:53], v[8:9], v[4:5]
	v_add_f64 v[12:13], v[16:17], v[12:13]
	v_mul_f64 v[110:111], v[64:65], v[140:141]
	v_fma_f64 v[82:83], v[64:65], v[138:139], -v[108:109]
	v_fmac_f64_e32 v[114:115], v[62:63], v[134:135]
	v_fmac_f64_e32 v[118:119], v[58:59], v[130:131]
	v_add_f64 v[58:59], v[22:23], -v[54:55]
	v_add_f64 v[62:63], v[54:55], -v[18:19]
	v_add_f64 v[54:55], v[10:11], v[6:7]
	v_add_f64 v[64:65], v[8:9], -v[4:5]
	v_add_f64 v[8:9], v[0:1], -v[8:9]
	;; [unrolled: 1-line block ×3, first 2 shown]
	v_add_f64 v[14:15], v[18:19], v[14:15]
	v_add_f64 v[0:1], v[52:53], v[0:1]
	;; [unrolled: 1-line block ×3, first 2 shown]
	v_fmac_f64_e32 v[110:111], v[66:67], v[138:139]
	v_add_f64 v[20:21], v[16:17], -v[20:21]
	v_add_f64 v[22:23], v[18:19], -v[22:23]
	v_add_f64 v[66:67], v[10:11], -v[6:7]
	v_add_f64 v[10:11], v[2:3], -v[10:11]
	v_add_f64 v[6:7], v[6:7], -v[2:3]
	v_add_f64 v[2:3], v[54:55], v[2:3]
	v_add_f64 v[54:55], v[70:71], v[14:15]
	v_mov_b64_e32 v[68:69], v[52:53]
	v_mul_f64 v[16:17], v[60:61], s[16:17]
	v_mul_f64 v[18:19], v[62:63], s[16:17]
	;; [unrolled: 1-line block ×8, first 2 shown]
	v_fmac_f64_e32 v[68:69], s[22:23], v[12:13]
	v_mov_b64_e32 v[12:13], v[54:55]
	v_mul_f64 v[104:105], v[74:75], v[144:145]
	v_mul_f64 v[106:107], v[72:73], v[144:145]
	s_waitcnt vmcnt(0)
	v_mul_f64 v[124:125], v[102:103], v[152:153]
	v_mul_f64 v[126:127], v[100:101], v[152:153]
	v_fmac_f64_e32 v[12:13], s[22:23], v[14:15]
	v_fma_f64 v[14:15], v[56:57], s[24:25], -v[60:61]
	v_fma_f64 v[60:61], v[58:59], s[24:25], -v[62:63]
	;; [unrolled: 1-line block ×3, first 2 shown]
	v_fmac_f64_e32 v[16:17], s[6:7], v[20:21]
	v_fma_f64 v[20:21], v[58:59], s[26:27], -v[18:19]
	v_fmac_f64_e32 v[18:19], s[6:7], v[22:23]
	v_fma_f64 v[4:5], v[4:5], s[18:19], -v[78:79]
	;; [unrolled: 2-line block ×4, first 2 shown]
	v_fma_f64 v[10:11], v[10:11], s[34:35], -v[66:67]
	v_fma_f64 v[80:81], v[72:73], v[142:143], -v[104:105]
	v_fmac_f64_e32 v[106:107], v[74:75], v[142:143]
	v_fma_f64 v[90:91], v[100:101], v[150:151], -v[124:125]
	v_fmac_f64_e32 v[126:127], v[102:103], v[150:151]
	v_add_f64 v[18:19], v[18:19], v[12:13]
	v_add_f64 v[22:23], v[60:61], v[12:13]
	;; [unrolled: 1-line block ×4, first 2 shown]
	v_fmac_f64_e32 v[8:9], s[30:31], v[0:1]
	v_fmac_f64_e32 v[10:11], s[30:31], v[2:3]
	v_add_f64 v[16:17], v[16:17], v[68:69]
	v_add_f64 v[14:15], v[14:15], v[68:69]
	v_fmac_f64_e32 v[78:79], s[30:31], v[0:1]
	v_fmac_f64_e32 v[76:77], s[30:31], v[2:3]
	;; [unrolled: 1-line block ×4, first 2 shown]
	v_add_f64 v[60:61], v[10:11], v[72:73]
	v_add_f64 v[62:63], v[12:13], -v[8:9]
	v_add_f64 v[72:73], v[72:73], -v[10:11]
	v_add_f64 v[74:75], v[8:9], v[12:13]
	v_add_f64 v[0:1], v[80:81], v[90:91]
	;; [unrolled: 1-line block ×6, first 2 shown]
	v_add_f64 v[58:59], v[18:19], -v[78:79]
	v_add_f64 v[64:65], v[14:15], -v[6:7]
	v_add_f64 v[66:67], v[4:5], v[22:23]
	v_add_f64 v[68:69], v[6:7], v[14:15]
	v_add_f64 v[70:71], v[22:23], -v[4:5]
	v_add_f64 v[76:77], v[16:17], -v[76:77]
	v_add_f64 v[78:79], v[78:79], v[18:19]
	v_add_f64 v[4:5], v[80:81], -v[90:91]
	v_add_f64 v[6:7], v[106:107], -v[126:127]
	;; [unrolled: 1-line block ×4, first 2 shown]
	v_add_f64 v[16:17], v[84:85], v[86:87]
	v_add_f64 v[18:19], v[114:115], v[118:119]
	v_add_f64 v[20:21], v[86:87], -v[84:85]
	v_add_f64 v[22:23], v[118:119], -v[114:115]
	v_add_f64 v[80:81], v[8:9], v[0:1]
	v_add_f64 v[82:83], v[10:11], v[2:3]
	v_add_f64 v[84:85], v[8:9], -v[0:1]
	v_add_f64 v[86:87], v[10:11], -v[2:3]
	;; [unrolled: 1-line block ×6, first 2 shown]
	v_add_f64 v[88:89], v[20:21], v[12:13]
	v_add_f64 v[90:91], v[22:23], v[14:15]
	v_add_f64 v[94:95], v[22:23], -v[14:15]
	v_add_f64 v[96:97], v[14:15], -v[6:7]
	v_add_f64 v[14:15], v[16:17], v[80:81]
	v_add_f64 v[16:17], v[18:19], v[82:83]
	v_add_f64 v[92:93], v[20:21], -v[12:13]
	v_add_f64 v[20:21], v[4:5], -v[20:21]
	v_add_f64 v[22:23], v[6:7], -v[22:23]
	v_add_f64 v[12:13], v[12:13], -v[4:5]
	v_add_f64 v[80:81], v[88:89], v[4:5]
	v_add_f64 v[82:83], v[90:91], v[6:7]
	;; [unrolled: 1-line block ×4, first 2 shown]
	v_mul_f64 v[4:5], v[0:1], s[16:17]
	v_mul_f64 v[6:7], v[2:3], s[16:17]
	;; [unrolled: 1-line block ×7, first 2 shown]
	v_fma_f64 v[94:95], s[22:23], v[14:15], v[48:49]
	v_fma_f64 v[98:99], s[22:23], v[16:17], v[50:51]
	;; [unrolled: 1-line block ×3, first 2 shown]
	v_fma_f64 v[102:103], v[86:87], s[24:25], -v[18:19]
	v_fma_f64 v[86:87], v[86:87], s[26:27], -v[6:7]
	v_fmac_f64_e32 v[6:7], s[6:7], v[10:11]
	v_fma_f64 v[10:11], v[96:97], s[18:19], -v[0:1]
	v_fmac_f64_e32 v[0:1], s[28:29], v[22:23]
	v_mul_f64 v[92:93], v[96:97], s[18:19]
	v_fma_f64 v[100:101], v[84:85], s[24:25], -v[2:3]
	v_fma_f64 v[84:85], v[84:85], s[26:27], -v[4:5]
	v_fma_f64 v[2:3], s[28:29], v[20:21], v[88:89]
	v_fma_f64 v[14:15], v[12:13], s[18:19], -v[88:89]
	v_fma_f64 v[12:13], v[20:21], s[34:35], -v[90:91]
	v_add_f64 v[4:5], v[16:17], v[94:95]
	v_fmac_f64_e32 v[0:1], s[30:31], v[82:83]
	v_fma_f64 v[8:9], v[22:23], s[34:35], -v[92:93]
	v_add_f64 v[6:7], v[6:7], v[98:99]
	v_fmac_f64_e32 v[2:3], s[30:31], v[80:81]
	v_fmac_f64_e32 v[14:15], s[30:31], v[80:81]
	;; [unrolled: 1-line block ×3, first 2 shown]
	v_add_f64 v[80:81], v[4:5], -v[0:1]
	v_fmac_f64_e32 v[10:11], s[30:31], v[82:83]
	v_fmac_f64_e32 v[8:9], s[30:31], v[82:83]
	v_add_f64 v[82:83], v[2:3], v[6:7]
	v_accvgpr_write_b32 a32, v80
	v_accvgpr_write_b32 a33, v81
	;; [unrolled: 1-line block ×4, first 2 shown]
	v_mul_u32_u24_e32 v80, 0x5b, v128
	v_add_u32_sdwa v80, v80, v129 dst_sel:DWORD dst_unused:UNUSED_PAD src0_sel:DWORD src1_sel:BYTE_0
	v_accvgpr_write_b32 a20, v142
	v_accvgpr_write_b32 a16, v138
	;; [unrolled: 1-line block ×6, first 2 shown]
	v_add_f64 v[18:19], v[100:101], v[94:95]
	v_add_f64 v[22:23], v[102:103], v[98:99]
	;; [unrolled: 1-line block ×4, first 2 shown]
	v_add_lshl_u32 v80, v244, v80, 4
	v_accvgpr_write_b32 a21, v143
	v_accvgpr_write_b32 a22, v144
	;; [unrolled: 1-line block ×18, first 2 shown]
	v_add_f64 v[92:93], v[10:11], v[18:19]
	v_add_f64 v[94:95], v[22:23], -v[14:15]
	v_add_f64 v[96:97], v[16:17], -v[8:9]
	v_add_f64 v[98:99], v[12:13], v[20:21]
	v_accvgpr_write_b32 a7, v80
	ds_write_b128 v80, v[52:55]
	ds_write_b128 v80, v[56:59] offset:208
	ds_write_b128 v80, v[60:63] offset:416
	ds_write_b128 v80, v[64:67] offset:624
	ds_write_b128 v80, v[68:71] offset:832
	ds_write_b128 v80, v[72:75] offset:1040
	ds_write_b128 v80, v[76:79] offset:1248
	s_and_saveexec_b64 s[6:7], s[2:3]
	s_cbranch_execz .LBB0_11
; %bb.10:
	v_add_f64 v[0:1], v[0:1], v[4:5]
	v_mul_u32_u24_e32 v4, 0x5b, v242
	v_add_u32_sdwa v4, v4, v243 dst_sel:DWORD dst_unused:UNUSED_PAD src0_sel:DWORD src1_sel:BYTE_0
	v_add_lshl_u32 v4, v244, v4, 4
	v_add_f64 v[54:55], v[14:15], v[22:23]
	v_add_f64 v[52:53], v[18:19], -v[10:11]
	v_add_f64 v[10:11], v[20:21], -v[12:13]
	v_add_f64 v[8:9], v[8:9], v[16:17]
	v_add_f64 v[2:3], v[6:7], -v[2:3]
	ds_write_b128 v4, v[48:51]
	ds_write_b128 v4, v[0:3] offset:208
	ds_write_b128 v4, v[8:11] offset:416
	;; [unrolled: 1-line block ×6, first 2 shown]
.LBB0_11:
	s_or_b64 exec, exec, s[6:7]
	s_movk_i32 s6, 0xa0
	v_mov_b64_e32 v[0:1], s[0:1]
	v_mad_u64_u32 v[0:1], s[0:1], v245, s6, v[0:1]
	s_waitcnt lgkmcnt(0)
	s_barrier
	global_load_dwordx4 v[60:63], v[0:1], off offset:1248
	global_load_dwordx4 v[56:59], v[0:1], off offset:1264
	;; [unrolled: 1-line block ×10, first 2 shown]
	ds_read_b128 v[16:19], v232
	ds_read_b128 v[4:7], v232 offset:1456
	ds_read_b128 v[12:15], v232 offset:2912
	;; [unrolled: 1-line block ×10, first 2 shown]
	s_mov_b32 s20, 0xf8bb580b
	s_mov_b32 s18, 0x43842ef
	;; [unrolled: 1-line block ×26, first 2 shown]
	s_waitcnt vmcnt(9) lgkmcnt(9)
	v_mul_f64 v[124:125], v[6:7], v[62:63]
	v_mul_f64 v[126:127], v[4:5], v[62:63]
	s_waitcnt vmcnt(8) lgkmcnt(8)
	v_mul_f64 v[128:129], v[14:15], v[58:59]
	v_fma_f64 v[124:125], v[4:5], v[60:61], -v[124:125]
	s_waitcnt vmcnt(5) lgkmcnt(5)
	v_mul_f64 v[138:139], v[102:103], v[78:79]
	v_mul_f64 v[130:131], v[12:13], v[58:59]
	v_mul_f64 v[132:133], v[22:23], v[54:55]
	v_mul_f64 v[0:1], v[100:101], v[78:79]
	v_fmac_f64_e32 v[126:127], v[6:7], v[60:61]
	v_fma_f64 v[128:129], v[12:13], v[56:57], -v[128:129]
	v_fma_f64 v[4:5], v[100:101], v[76:77], -v[138:139]
	v_add_f64 v[100:101], v[16:17], v[124:125]
	v_mul_f64 v[134:135], v[20:21], v[54:55]
	v_mul_f64 v[136:137], v[90:91], v[50:51]
	v_fmac_f64_e32 v[130:131], v[14:15], v[56:57]
	v_fma_f64 v[20:21], v[20:21], v[52:53], -v[132:133]
	v_fmac_f64_e32 v[0:1], v[102:103], v[76:77]
	v_add_f64 v[102:103], v[18:19], v[126:127]
	v_add_f64 v[100:101], v[100:101], v[128:129]
	v_mul_f64 v[8:9], v[88:89], v[50:51]
	v_fmac_f64_e32 v[134:135], v[22:23], v[52:53]
	v_fma_f64 v[12:13], v[88:89], v[48:49], -v[136:137]
	v_add_f64 v[102:103], v[102:103], v[130:131]
	v_add_f64 v[100:101], v[100:101], v[20:21]
	s_waitcnt vmcnt(4) lgkmcnt(4)
	v_mul_f64 v[140:141], v[106:107], v[74:75]
	v_fmac_f64_e32 v[8:9], v[90:91], v[48:49]
	v_add_f64 v[102:103], v[102:103], v[134:135]
	v_add_f64 v[100:101], v[100:101], v[12:13]
	v_mul_f64 v[2:3], v[104:105], v[74:75]
	s_waitcnt vmcnt(3) lgkmcnt(3)
	v_mul_f64 v[142:143], v[110:111], v[70:71]
	v_fma_f64 v[6:7], v[104:105], v[72:73], -v[140:141]
	v_add_f64 v[102:103], v[102:103], v[8:9]
	v_add_f64 v[100:101], v[100:101], v[4:5]
	v_mul_f64 v[10:11], v[108:109], v[70:71]
	s_waitcnt vmcnt(2) lgkmcnt(2)
	v_mul_f64 v[144:145], v[114:115], v[66:67]
	v_fmac_f64_e32 v[2:3], v[106:107], v[72:73]
	v_fma_f64 v[14:15], v[108:109], v[68:69], -v[142:143]
	v_add_f64 v[102:103], v[102:103], v[0:1]
	v_add_f64 v[100:101], v[100:101], v[6:7]
	v_mul_f64 v[146:147], v[112:113], v[66:67]
	s_waitcnt vmcnt(1) lgkmcnt(1)
	v_mul_f64 v[148:149], v[118:119], v[86:87]
	s_waitcnt vmcnt(0) lgkmcnt(0)
	v_mul_f64 v[152:153], v[122:123], v[82:83]
	v_mul_f64 v[154:155], v[120:121], v[82:83]
	v_fmac_f64_e32 v[10:11], v[110:111], v[68:69]
	v_fma_f64 v[22:23], v[112:113], v[64:65], -v[144:145]
	v_add_f64 v[102:103], v[102:103], v[2:3]
	v_add_f64 v[100:101], v[100:101], v[14:15]
	v_mul_f64 v[150:151], v[116:117], v[86:87]
	v_fmac_f64_e32 v[146:147], v[114:115], v[64:65]
	v_fma_f64 v[88:89], v[116:117], v[84:85], -v[148:149]
	v_fma_f64 v[90:91], v[120:121], v[80:81], -v[152:153]
	v_fmac_f64_e32 v[154:155], v[122:123], v[80:81]
	v_add_f64 v[102:103], v[102:103], v[10:11]
	v_add_f64 v[100:101], v[100:101], v[22:23]
	v_fmac_f64_e32 v[150:151], v[118:119], v[84:85]
	v_add_f64 v[108:109], v[124:125], -v[90:91]
	v_add_f64 v[110:111], v[126:127], -v[154:155]
	v_add_f64 v[102:103], v[102:103], v[146:147]
	v_add_f64 v[100:101], v[100:101], v[88:89]
	;; [unrolled: 1-line block ×6, first 2 shown]
	v_mul_f64 v[90:91], v[110:111], s[20:21]
	v_mul_f64 v[114:115], v[108:109], s[20:21]
	;; [unrolled: 1-line block ×10, first 2 shown]
	v_add_f64 v[102:103], v[102:103], v[154:155]
	v_fma_f64 v[112:113], v[104:105], s[22:23], -v[90:91]
	v_fma_f64 v[116:117], s[22:23], v[106:107], v[114:115]
	v_fmac_f64_e32 v[90:91], s[22:23], v[104:105]
	v_fma_f64 v[114:115], v[106:107], s[22:23], -v[114:115]
	v_fma_f64 v[120:121], v[104:105], s[0:1], -v[118:119]
	v_fma_f64 v[124:125], s[0:1], v[106:107], v[122:123]
	v_fmac_f64_e32 v[118:119], s[0:1], v[104:105]
	v_fma_f64 v[122:123], v[106:107], s[0:1], -v[122:123]
	;; [unrolled: 4-line block ×5, first 2 shown]
	v_add_f64 v[108:109], v[130:131], -v[150:151]
	v_add_f64 v[112:113], v[16:17], v[112:113]
	v_add_f64 v[116:117], v[18:19], v[116:117]
	;; [unrolled: 1-line block ×21, first 2 shown]
	v_mul_f64 v[110:111], v[108:109], s[16:17]
	v_add_f64 v[88:89], v[128:129], -v[88:89]
	v_fma_f64 v[128:129], v[104:105], s[0:1], -v[110:111]
	v_add_f64 v[106:107], v[130:131], v[150:151]
	v_add_f64 v[112:113], v[128:129], v[112:113]
	v_mul_f64 v[128:129], v[88:89], s[16:17]
	v_fmac_f64_e32 v[110:111], s[0:1], v[104:105]
	v_add_f64 v[90:91], v[110:111], v[90:91]
	v_fma_f64 v[110:111], v[106:107], s[0:1], -v[128:129]
	v_add_f64 v[110:111], v[110:111], v[114:115]
	v_mul_f64 v[114:115], v[108:109], s[26:27]
	v_fma_f64 v[130:131], s[0:1], v[106:107], v[128:129]
	v_fma_f64 v[128:129], v[104:105], s[24:25], -v[114:115]
	v_add_f64 v[120:121], v[128:129], v[120:121]
	v_mul_f64 v[128:129], v[88:89], s[26:27]
	v_fmac_f64_e32 v[114:115], s[24:25], v[104:105]
	v_add_f64 v[114:115], v[114:115], v[118:119]
	v_fma_f64 v[118:119], v[106:107], s[24:25], -v[128:129]
	v_add_f64 v[116:117], v[130:131], v[116:117]
	v_fma_f64 v[130:131], s[24:25], v[106:107], v[128:129]
	v_add_f64 v[118:119], v[118:119], v[122:123]
	v_mul_f64 v[122:123], v[108:109], s[38:39]
	v_add_f64 v[124:125], v[130:131], v[124:125]
	v_fma_f64 v[128:129], v[104:105], s[28:29], -v[122:123]
	v_mul_f64 v[130:131], v[88:89], s[38:39]
	v_fmac_f64_e32 v[122:123], s[28:29], v[104:105]
	v_add_f64 v[128:129], v[128:129], v[132:133]
	v_fma_f64 v[132:133], s[28:29], v[106:107], v[130:131]
	v_add_f64 v[122:123], v[122:123], v[126:127]
	v_fma_f64 v[126:127], v[106:107], s[28:29], -v[130:131]
	v_mul_f64 v[130:131], v[108:109], s[36:37]
	v_add_f64 v[132:133], v[132:133], v[138:139]
	v_add_f64 v[126:127], v[126:127], v[136:137]
	v_fma_f64 v[136:137], v[104:105], s[6:7], -v[130:131]
	v_mul_f64 v[138:139], v[88:89], s[36:37]
	v_add_f64 v[136:137], v[136:137], v[142:143]
	v_fma_f64 v[142:143], s[6:7], v[106:107], v[138:139]
	v_fma_f64 v[138:139], v[106:107], s[6:7], -v[138:139]
	v_mul_f64 v[88:89], v[88:89], s[34:35]
	v_add_f64 v[138:139], v[138:139], v[144:145]
	v_fma_f64 v[144:145], s[22:23], v[106:107], v[88:89]
	v_fma_f64 v[88:89], v[106:107], s[22:23], -v[88:89]
	v_fmac_f64_e32 v[130:131], s[6:7], v[104:105]
	v_mul_f64 v[108:109], v[108:109], s[34:35]
	v_add_f64 v[18:19], v[88:89], v[18:19]
	v_add_f64 v[88:89], v[20:21], v[22:23]
	v_add_f64 v[20:21], v[20:21], -v[22:23]
	v_add_f64 v[22:23], v[134:135], -v[146:147]
	v_add_f64 v[130:131], v[130:131], v[140:141]
	v_fma_f64 v[140:141], v[104:105], s[22:23], -v[108:109]
	v_fmac_f64_e32 v[108:109], s[22:23], v[104:105]
	v_mul_f64 v[106:107], v[22:23], s[18:19]
	v_add_f64 v[16:17], v[108:109], v[16:17]
	v_fma_f64 v[108:109], v[88:89], s[6:7], -v[106:107]
	v_add_f64 v[104:105], v[134:135], v[146:147]
	v_add_f64 v[108:109], v[108:109], v[112:113]
	v_mul_f64 v[112:113], v[20:21], s[18:19]
	v_fmac_f64_e32 v[106:107], s[6:7], v[88:89]
	v_add_f64 v[90:91], v[106:107], v[90:91]
	v_fma_f64 v[106:107], v[104:105], s[6:7], -v[112:113]
	v_add_f64 v[106:107], v[106:107], v[110:111]
	v_mul_f64 v[110:111], v[22:23], s[38:39]
	v_fma_f64 v[134:135], s[6:7], v[104:105], v[112:113]
	v_fma_f64 v[112:113], v[88:89], s[28:29], -v[110:111]
	v_add_f64 v[112:113], v[112:113], v[120:121]
	v_mul_f64 v[120:121], v[20:21], s[38:39]
	v_fmac_f64_e32 v[110:111], s[28:29], v[88:89]
	v_add_f64 v[110:111], v[110:111], v[114:115]
	v_fma_f64 v[114:115], v[104:105], s[28:29], -v[120:121]
	s_mov_b32 s17, 0x3fed1bb4
	v_add_f64 v[114:115], v[114:115], v[118:119]
	v_mul_f64 v[118:119], v[22:23], s[16:17]
	v_add_f64 v[116:117], v[134:135], v[116:117]
	v_fma_f64 v[134:135], s[28:29], v[104:105], v[120:121]
	v_fma_f64 v[120:121], v[88:89], s[0:1], -v[118:119]
	v_add_f64 v[120:121], v[120:121], v[128:129]
	v_mul_f64 v[128:129], v[20:21], s[16:17]
	v_fmac_f64_e32 v[118:119], s[0:1], v[88:89]
	v_add_f64 v[118:119], v[118:119], v[122:123]
	v_fma_f64 v[122:123], v[104:105], s[0:1], -v[128:129]
	v_add_f64 v[124:125], v[134:135], v[124:125]
	v_fma_f64 v[134:135], s[0:1], v[104:105], v[128:129]
	v_add_f64 v[122:123], v[122:123], v[126:127]
	v_mul_f64 v[126:127], v[22:23], s[20:21]
	v_add_f64 v[132:133], v[134:135], v[132:133]
	v_fma_f64 v[128:129], v[88:89], s[22:23], -v[126:127]
	v_mul_f64 v[134:135], v[20:21], s[20:21]
	v_fmac_f64_e32 v[126:127], s[22:23], v[88:89]
	v_mul_f64 v[22:23], v[22:23], s[26:27]
	v_add_f64 v[128:129], v[128:129], v[136:137]
	v_fma_f64 v[136:137], s[22:23], v[104:105], v[134:135]
	v_add_f64 v[126:127], v[126:127], v[130:131]
	v_fma_f64 v[130:131], v[104:105], s[22:23], -v[134:135]
	v_fma_f64 v[134:135], v[88:89], s[24:25], -v[22:23]
	v_mul_f64 v[20:21], v[20:21], s[26:27]
	v_fmac_f64_e32 v[22:23], s[24:25], v[88:89]
	v_add_f64 v[130:131], v[130:131], v[138:139]
	v_fma_f64 v[138:139], s[24:25], v[104:105], v[20:21]
	v_add_f64 v[16:17], v[22:23], v[16:17]
	v_fma_f64 v[20:21], v[104:105], s[24:25], -v[20:21]
	v_add_f64 v[22:23], v[8:9], v[10:11]
	v_add_f64 v[8:9], v[8:9], -v[10:11]
	v_add_f64 v[18:19], v[20:21], v[18:19]
	v_add_f64 v[20:21], v[12:13], v[14:15]
	v_add_f64 v[12:13], v[12:13], -v[14:15]
	v_mul_f64 v[10:11], v[8:9], s[26:27]
	v_fma_f64 v[14:15], v[20:21], s[24:25], -v[10:11]
	v_mul_f64 v[88:89], v[12:13], s[26:27]
	v_fmac_f64_e32 v[10:11], s[24:25], v[20:21]
	v_fma_f64 v[104:105], s[24:25], v[22:23], v[88:89]
	v_add_f64 v[10:11], v[10:11], v[90:91]
	v_mul_f64 v[90:91], v[8:9], s[36:37]
	v_add_f64 v[14:15], v[14:15], v[108:109]
	v_add_f64 v[108:109], v[104:105], v[116:117]
	v_fma_f64 v[104:105], v[20:21], s[6:7], -v[90:91]
	v_fma_f64 v[88:89], v[22:23], s[24:25], -v[88:89]
	v_add_f64 v[112:113], v[104:105], v[112:113]
	v_mul_f64 v[104:105], v[12:13], s[36:37]
	v_add_f64 v[88:89], v[88:89], v[106:107]
	v_fma_f64 v[106:107], s[6:7], v[22:23], v[104:105]
	v_fma_f64 v[104:105], v[22:23], s[6:7], -v[104:105]
	v_add_f64 v[114:115], v[104:105], v[114:115]
	v_mul_f64 v[104:105], v[8:9], s[20:21]
	v_add_f64 v[140:141], v[140:141], v[152:153]
	v_add_f64 v[116:117], v[106:107], v[124:125]
	v_fma_f64 v[106:107], v[20:21], s[22:23], -v[104:105]
	v_add_f64 v[134:135], v[134:135], v[140:141]
	v_add_f64 v[140:141], v[106:107], v[120:121]
	v_mul_f64 v[106:107], v[12:13], s[20:21]
	v_fmac_f64_e32 v[104:105], s[22:23], v[20:21]
	v_add_f64 v[142:143], v[142:143], v[148:149]
	v_add_f64 v[118:119], v[104:105], v[118:119]
	v_fma_f64 v[104:105], v[22:23], s[22:23], -v[106:107]
	v_add_f64 v[136:137], v[136:137], v[142:143]
	v_fmac_f64_e32 v[90:91], s[6:7], v[20:21]
	v_add_f64 v[142:143], v[104:105], v[122:123]
	v_mul_f64 v[104:105], v[8:9], s[30:31]
	v_add_f64 v[90:91], v[90:91], v[110:111]
	v_fma_f64 v[110:111], s[22:23], v[22:23], v[106:107]
	v_fma_f64 v[106:107], v[20:21], s[28:29], -v[104:105]
	v_add_f64 v[144:145], v[144:145], v[154:155]
	v_add_f64 v[128:129], v[106:107], v[128:129]
	v_mul_f64 v[106:107], v[12:13], s[30:31]
	v_fmac_f64_e32 v[104:105], s[28:29], v[20:21]
	v_add_f64 v[138:139], v[138:139], v[144:145]
	v_add_f64 v[144:145], v[104:105], v[126:127]
	v_fma_f64 v[104:105], v[22:23], s[28:29], -v[106:107]
	v_mul_f64 v[8:9], v[8:9], s[16:17]
	v_add_f64 v[130:131], v[104:105], v[130:131]
	v_fma_f64 v[104:105], v[20:21], s[0:1], -v[8:9]
	v_mul_f64 v[12:13], v[12:13], s[16:17]
	v_add_f64 v[146:147], v[104:105], v[134:135]
	v_fma_f64 v[104:105], s[0:1], v[22:23], v[12:13]
	v_fma_f64 v[12:13], v[22:23], s[0:1], -v[12:13]
	v_fmac_f64_e32 v[8:9], s[0:1], v[20:21]
	v_add_f64 v[12:13], v[12:13], v[18:19]
	v_add_f64 v[18:19], v[0:1], v[2:3]
	v_add_f64 v[0:1], v[0:1], -v[2:3]
	v_add_f64 v[8:9], v[8:9], v[16:17]
	v_add_f64 v[16:17], v[4:5], v[6:7]
	v_mul_f64 v[2:3], v[0:1], s[30:31]
	v_add_f64 v[4:5], v[4:5], -v[6:7]
	v_fma_f64 v[6:7], v[16:17], s[28:29], -v[2:3]
	v_add_f64 v[148:149], v[104:105], v[138:139]
	v_add_f64 v[104:105], v[6:7], v[14:15]
	v_mul_f64 v[6:7], v[4:5], s[30:31]
	v_fmac_f64_e32 v[2:3], s[28:29], v[16:17]
	v_add_f64 v[120:121], v[2:3], v[10:11]
	v_fma_f64 v[2:3], v[18:19], s[28:29], -v[6:7]
	v_add_f64 v[122:123], v[2:3], v[88:89]
	v_mul_f64 v[2:3], v[0:1], s[34:35]
	v_fma_f64 v[14:15], s[28:29], v[18:19], v[6:7]
	v_fma_f64 v[6:7], v[16:17], s[22:23], -v[2:3]
	v_add_f64 v[132:133], v[110:111], v[132:133]
	v_fma_f64 v[110:111], s[28:29], v[22:23], v[106:107]
	v_add_f64 v[106:107], v[14:15], v[108:109]
	v_add_f64 v[108:109], v[6:7], v[112:113]
	v_mul_f64 v[6:7], v[4:5], s[34:35]
	v_fmac_f64_e32 v[2:3], s[22:23], v[16:17]
	v_add_f64 v[124:125], v[2:3], v[90:91]
	v_fma_f64 v[2:3], v[18:19], s[22:23], -v[6:7]
	v_add_f64 v[126:127], v[2:3], v[114:115]
	v_mul_f64 v[2:3], v[0:1], s[26:27]
	v_fma_f64 v[10:11], s[22:23], v[18:19], v[6:7]
	v_fma_f64 v[6:7], v[16:17], s[24:25], -v[2:3]
	v_add_f64 v[112:113], v[6:7], v[140:141]
	v_mul_f64 v[6:7], v[4:5], s[26:27]
	v_add_f64 v[136:137], v[110:111], v[136:137]
	v_add_f64 v[110:111], v[10:11], v[116:117]
	v_fma_f64 v[10:11], s[24:25], v[18:19], v[6:7]
	v_fmac_f64_e32 v[2:3], s[24:25], v[16:17]
	v_add_f64 v[114:115], v[10:11], v[132:133]
	v_add_f64 v[132:133], v[2:3], v[118:119]
	v_fma_f64 v[2:3], v[18:19], s[24:25], -v[6:7]
	v_add_f64 v[134:135], v[2:3], v[142:143]
	v_mul_f64 v[2:3], v[0:1], s[16:17]
	v_fma_f64 v[6:7], v[16:17], s[0:1], -v[2:3]
	v_add_f64 v[116:117], v[6:7], v[128:129]
	v_mul_f64 v[6:7], v[4:5], s[16:17]
	v_fma_f64 v[10:11], s[0:1], v[18:19], v[6:7]
	v_fmac_f64_e32 v[2:3], s[0:1], v[16:17]
	v_add_f64 v[118:119], v[10:11], v[136:137]
	v_add_f64 v[136:137], v[2:3], v[144:145]
	v_fma_f64 v[2:3], v[18:19], s[0:1], -v[6:7]
	v_mul_f64 v[0:1], v[0:1], s[18:19]
	v_add_f64 v[138:139], v[2:3], v[130:131]
	v_fma_f64 v[2:3], v[16:17], s[6:7], -v[0:1]
	v_add_f64 v[128:129], v[2:3], v[146:147]
	v_mul_f64 v[2:3], v[4:5], s[18:19]
	v_fmac_f64_e32 v[0:1], s[6:7], v[16:17]
	v_add_f64 v[140:141], v[0:1], v[8:9]
	v_fma_f64 v[0:1], v[18:19], s[6:7], -v[2:3]
	v_fma_f64 v[4:5], s[6:7], v[18:19], v[2:3]
	v_add_f64 v[142:143], v[0:1], v[12:13]
	v_accvgpr_read_b32 v0, a3
	v_add_f64 v[130:131], v[4:5], v[148:149]
	v_lshl_add_u32 v233, v245, 4, v0
	ds_write_b128 v233, v[100:103]
	ds_write_b128 v233, v[104:107] offset:1456
	ds_write_b128 v233, v[108:111] offset:2912
	;; [unrolled: 1-line block ×10, first 2 shown]
	s_waitcnt lgkmcnt(0)
	s_barrier
	s_and_saveexec_b64 s[6:7], s[4:5]
	s_cbranch_execz .LBB0_13
; %bb.12:
	v_accvgpr_read_b32 v0, a2
	v_mov_b32_e32 v1, 0
	v_lshl_add_u64 v[160:161], s[14:15], 0, v[0:1]
	s_mov_b64 s[0:1], 0x3e90
	v_lshl_add_u64 v[12:13], v[160:161], 0, s[0:1]
	s_movk_i32 s0, 0x5000
	v_add_co_u32_e64 v0, s[0:1], s0, v160
	global_load_dwordx4 v[144:147], v[12:13], off offset:1232
	global_load_dwordx4 v[148:151], v[12:13], off offset:2464
	v_addc_co_u32_e64 v1, s[0:1], 0, v161, s[0:1]
	s_movk_i32 s0, 0x6000
	global_load_dwordx4 v[152:155], v[0:1], off offset:464
	global_load_dwordx4 v[156:159], v[0:1], off offset:1696
	v_add_co_u32_e64 v88, s[0:1], s0, v160
	v_add_co_u32_e32 v8, vcc, 0x3000, v160
	s_nop 0
	v_addc_co_u32_e64 v89, s[0:1], 0, v161, s[0:1]
	global_load_dwordx4 v[0:3], v[0:1], off offset:2928
	s_nop 0
	global_load_dwordx4 v[4:7], v[88:89], off offset:64
	v_addc_co_u32_e32 v9, vcc, 0, v161, vcc
	global_load_dwordx4 v[8:11], v[8:9], off offset:3728
	s_nop 0
	global_load_dwordx4 v[12:15], v[12:13], off offset:3696
	s_nop 0
	global_load_dwordx4 v[16:19], v[88:89], off offset:1296
	global_load_dwordx4 v[20:23], v[88:89], off offset:2528
	s_movk_i32 s0, 0x7000
	global_load_dwordx4 v[88:91], v[88:89], off offset:3760
	v_add_co_u32_e32 v164, vcc, s0, v160
	s_nop 1
	v_addc_co_u32_e32 v165, vcc, 0, v161, vcc
	global_load_dwordx4 v[160:163], v[164:165], off offset:896
	s_nop 0
	global_load_dwordx4 v[164:167], v[164:165], off offset:2128
	ds_read_b128 v[168:171], v233
	ds_read_b128 v[172:175], v233 offset:1232
	ds_read_b128 v[176:179], v233 offset:2464
	;; [unrolled: 1-line block ×7, first 2 shown]
	s_waitcnt vmcnt(12) lgkmcnt(6)
	v_mul_f64 v[200:201], v[174:175], v[146:147]
	v_mul_f64 v[202:203], v[172:173], v[146:147]
	s_waitcnt vmcnt(11) lgkmcnt(5)
	v_mul_f64 v[204:205], v[178:179], v[150:151]
	v_mul_f64 v[146:147], v[176:177], v[150:151]
	;; [unrolled: 3-line block ×4, first 2 shown]
	v_fma_f64 v[200:201], v[172:173], v[144:145], -v[200:201]
	v_fmac_f64_e32 v[202:203], v[174:175], v[144:145]
	v_fma_f64 v[144:145], v[176:177], v[148:149], -v[204:205]
	s_waitcnt vmcnt(8) lgkmcnt(1)
	v_mul_f64 v[210:211], v[194:195], v[2:3]
	v_mul_f64 v[158:159], v[192:193], v[2:3]
	v_fmac_f64_e32 v[146:147], v[178:179], v[148:149]
	v_fma_f64 v[148:149], v[184:185], v[152:153], -v[206:207]
	v_fmac_f64_e32 v[150:151], v[186:187], v[152:153]
	s_waitcnt vmcnt(7) lgkmcnt(0)
	v_mul_f64 v[212:213], v[198:199], v[6:7]
	v_mul_f64 v[2:3], v[196:197], v[6:7]
	s_waitcnt vmcnt(6)
	v_mul_f64 v[214:215], v[170:171], v[10:11]
	v_mul_f64 v[6:7], v[168:169], v[10:11]
	s_waitcnt vmcnt(5)
	v_mul_f64 v[172:173], v[182:183], v[14:15]
	v_mul_f64 v[10:11], v[180:181], v[14:15]
	v_fma_f64 v[152:153], v[188:189], v[156:157], -v[208:209]
	v_fmac_f64_e32 v[154:155], v[190:191], v[156:157]
	v_fma_f64 v[156:157], v[192:193], v[0:1], -v[210:211]
	v_fmac_f64_e32 v[158:159], v[194:195], v[0:1]
	ds_write_b128 v233, v[200:203] offset:1232
	ds_write_b128 v233, v[144:147] offset:2464
	;; [unrolled: 1-line block ×5, first 2 shown]
	v_fma_f64 v[0:1], v[196:197], v[4:5], -v[212:213]
	v_fmac_f64_e32 v[2:3], v[198:199], v[4:5]
	v_fma_f64 v[4:5], v[168:169], v[8:9], -v[214:215]
	v_fmac_f64_e32 v[6:7], v[170:171], v[8:9]
	;; [unrolled: 2-line block ×3, first 2 shown]
	ds_read_b128 v[12:15], v233 offset:9856
	ds_write_b128 v233, v[0:3] offset:8624
	ds_write_b128 v233, v[4:7]
	ds_write_b128 v233, v[8:11] offset:3696
	ds_read_b128 v[0:3], v233 offset:11088
	ds_read_b128 v[8:11], v233 offset:12320
	s_waitcnt vmcnt(4) lgkmcnt(5)
	v_mul_f64 v[4:5], v[14:15], v[18:19]
	v_mul_f64 v[6:7], v[12:13], v[18:19]
	v_fma_f64 v[4:5], v[12:13], v[16:17], -v[4:5]
	v_fmac_f64_e32 v[6:7], v[14:15], v[16:17]
	ds_write_b128 v233, v[4:7] offset:9856
	s_waitcnt vmcnt(3) lgkmcnt(2)
	v_mul_f64 v[4:5], v[2:3], v[22:23]
	v_mul_f64 v[6:7], v[0:1], v[22:23]
	v_fma_f64 v[4:5], v[0:1], v[20:21], -v[4:5]
	v_fmac_f64_e32 v[6:7], v[2:3], v[20:21]
	ds_write_b128 v233, v[4:7] offset:11088
	s_waitcnt vmcnt(2) lgkmcnt(2)
	v_mul_f64 v[4:5], v[10:11], v[90:91]
	v_mul_f64 v[6:7], v[8:9], v[90:91]
	ds_read_b128 v[0:3], v233 offset:13552
	v_fma_f64 v[4:5], v[8:9], v[88:89], -v[4:5]
	v_fmac_f64_e32 v[6:7], v[10:11], v[88:89]
	ds_write_b128 v233, v[4:7] offset:12320
	ds_read_b128 v[4:7], v233 offset:14784
	s_waitcnt vmcnt(1) lgkmcnt(2)
	v_mul_f64 v[8:9], v[2:3], v[162:163]
	v_mul_f64 v[10:11], v[0:1], v[162:163]
	v_fma_f64 v[8:9], v[0:1], v[160:161], -v[8:9]
	v_fmac_f64_e32 v[10:11], v[2:3], v[160:161]
	s_waitcnt vmcnt(0) lgkmcnt(0)
	v_mul_f64 v[0:1], v[6:7], v[166:167]
	v_mul_f64 v[2:3], v[4:5], v[166:167]
	v_fma_f64 v[0:1], v[4:5], v[164:165], -v[0:1]
	v_fmac_f64_e32 v[2:3], v[6:7], v[164:165]
	ds_write_b128 v233, v[8:11] offset:13552
	ds_write_b128 v233, v[0:3] offset:14784
.LBB0_13:
	s_or_b64 exec, exec, s[6:7]
	s_waitcnt lgkmcnt(0)
	s_barrier
	s_and_saveexec_b64 s[0:1], s[4:5]
	s_cbranch_execz .LBB0_15
; %bb.14:
	ds_read_b128 v[100:103], v233
	ds_read_b128 v[104:107], v233 offset:1232
	ds_read_b128 v[108:111], v233 offset:2464
	;; [unrolled: 1-line block ×12, first 2 shown]
.LBB0_15:
	s_or_b64 exec, exec, s[0:1]
	s_mov_b32 s44, 0x4267c47c
	s_waitcnt lgkmcnt(0)
	v_add_f64 v[2:3], v[106:107], -v[98:99]
	s_mov_b32 s0, 0xe00740e9
	s_mov_b32 s45, 0xbfddbe06
	;; [unrolled: 1-line block ×3, first 2 shown]
	v_add_f64 v[0:1], v[106:107], v[98:99]
	s_mov_b32 s1, 0x3fec55a7
	v_mul_f64 v[4:5], v[2:3], s[44:45]
	s_mov_b32 s17, 0xbfea55e2
	v_add_f64 v[144:145], v[110:111], -v[94:95]
	v_add_f64 v[216:217], v[104:105], v[96:97]
	v_mul_f64 v[6:7], v[0:1], s[0:1]
	v_accvgpr_write_b32 a37, v5
	s_mov_b32 s6, 0x1ea71119
	v_mul_f64 v[146:147], v[144:145], s[16:17]
	v_add_f64 v[218:219], v[104:105], -v[96:97]
	v_accvgpr_write_b32 a36, v4
	v_fma_f64 v[4:5], v[216:217], s[0:1], -v[4:5]
	v_accvgpr_write_b32 a39, v7
	s_mov_b32 s7, 0x3fe22d96
	v_add_f64 v[238:239], v[108:109], v[92:93]
	v_add_f64 v[90:91], v[110:111], v[94:95]
	v_accvgpr_write_b32 a46, v146
	v_add_f64 v[4:5], v[100:101], v[4:5]
	v_accvgpr_write_b32 a38, v6
	v_fma_f64 v[6:7], s[44:45], v[218:219], v[6:7]
	s_mov_b32 s30, 0x2ef20147
	v_add_f64 v[240:241], v[108:109], -v[92:93]
	v_mul_f64 v[148:149], v[90:91], s[6:7]
	v_accvgpr_write_b32 a47, v147
	v_fma_f64 v[146:147], v[238:239], s[6:7], -v[146:147]
	v_add_f64 v[6:7], v[102:103], v[6:7]
	v_mul_f64 v[8:9], v[2:3], s[16:17]
	s_mov_b32 s31, 0xbfedeba7
	v_add_f64 v[4:5], v[146:147], v[4:5]
	v_fma_f64 v[146:147], s[16:17], v[240:241], v[148:149]
	v_mul_f64 v[10:11], v[0:1], s[6:7]
	v_accvgpr_write_b32 a41, v9
	s_mov_b32 s34, 0xb2365da1
	v_add_f64 v[6:7], v[146:147], v[6:7]
	v_mul_f64 v[146:147], v[144:145], s[30:31]
	v_accvgpr_write_b32 a40, v8
	v_fma_f64 v[8:9], v[216:217], s[6:7], -v[8:9]
	v_accvgpr_write_b32 a43, v11
	s_mov_b32 s28, 0x66966769
	s_mov_b32 s35, 0xbfd6b1d8
	v_accvgpr_write_b32 a50, v148
	v_accvgpr_write_b32 a52, v146
	v_add_f64 v[8:9], v[100:101], v[8:9]
	v_accvgpr_write_b32 a42, v10
	v_fma_f64 v[10:11], s[16:17], v[218:219], v[10:11]
	s_mov_b32 s18, 0xebaa3ed8
	s_mov_b32 s29, 0xbfefc445
	s_mov_b32 s24, 0x4bc48dbf
	v_accvgpr_write_b32 a51, v149
	v_mul_f64 v[148:149], v[90:91], s[34:35]
	v_accvgpr_write_b32 a53, v147
	v_fma_f64 v[146:147], v[238:239], s[34:35], -v[146:147]
	v_add_f64 v[10:11], v[102:103], v[10:11]
	s_mov_b32 s19, 0x3fbedb7d
	v_mul_f64 v[12:13], v[2:3], s[28:29]
	s_mov_b32 s25, 0xbfcea1e5
	v_add_f64 v[8:9], v[146:147], v[8:9]
	v_fma_f64 v[146:147], s[30:31], v[240:241], v[148:149]
	v_mul_f64 v[14:15], v[0:1], s[18:19]
	v_accvgpr_write_b32 a45, v13
	s_mov_b32 s26, 0x93053d00
	v_add_f64 v[10:11], v[146:147], v[10:11]
	v_mul_f64 v[146:147], v[144:145], s[24:25]
	v_accvgpr_write_b32 a44, v12
	v_fma_f64 v[12:13], v[216:217], s[18:19], -v[12:13]
	v_accvgpr_write_b32 a49, v15
	s_mov_b32 s27, 0xbfef11f4
	v_accvgpr_write_b32 a56, v148
	v_accvgpr_write_b32 a60, v146
	v_add_f64 v[12:13], v[100:101], v[12:13]
	v_accvgpr_write_b32 a48, v14
	v_fma_f64 v[14:15], s[28:29], v[218:219], v[14:15]
	s_mov_b32 s22, 0x24c2f84
	v_accvgpr_write_b32 a57, v149
	v_mul_f64 v[148:149], v[90:91], s[26:27]
	v_accvgpr_write_b32 a61, v147
	v_fma_f64 v[146:147], v[238:239], s[26:27], -v[146:147]
	v_add_f64 v[14:15], v[102:103], v[14:15]
	v_mul_f64 v[16:17], v[2:3], s[30:31]
	s_mov_b32 s23, 0xbfe5384d
	v_add_f64 v[12:13], v[146:147], v[12:13]
	v_fma_f64 v[146:147], s[24:25], v[240:241], v[148:149]
	s_mov_b32 s43, 0x3fe5384d
	s_mov_b32 s42, s22
	v_mul_f64 v[18:19], v[0:1], s[34:35]
	v_accvgpr_write_b32 a55, v17
	s_mov_b32 s20, 0xd0032e0c
	v_add_f64 v[14:15], v[146:147], v[14:15]
	v_mul_f64 v[146:147], v[144:145], s[42:43]
	v_accvgpr_write_b32 a54, v16
	v_fma_f64 v[16:17], v[216:217], s[34:35], -v[16:17]
	v_accvgpr_write_b32 a65, v19
	s_mov_b32 s21, 0xbfe7f3cc
	v_mul_f64 v[20:21], v[2:3], s[22:23]
	v_accvgpr_write_b32 a66, v148
	v_accvgpr_write_b32 a74, v146
	v_add_f64 v[16:17], v[100:101], v[16:17]
	v_accvgpr_write_b32 a64, v18
	v_fma_f64 v[18:19], s[30:31], v[218:219], v[18:19]
	v_accvgpr_write_b32 a81, v21
	v_accvgpr_write_b32 a67, v149
	v_mul_f64 v[148:149], v[90:91], s[20:21]
	v_accvgpr_write_b32 a75, v147
	v_fma_f64 v[146:147], v[238:239], s[20:21], -v[146:147]
	s_mov_b32 s39, 0x3fefc445
	s_mov_b32 s38, s28
	v_add_f64 v[18:19], v[102:103], v[18:19]
	v_mul_f64 v[246:247], v[0:1], s[20:21]
	v_accvgpr_write_b32 a80, v20
	v_fma_f64 v[20:21], v[216:217], s[20:21], -v[20:21]
	v_add_f64 v[16:17], v[146:147], v[16:17]
	v_fma_f64 v[146:147], s[42:43], v[240:241], v[148:149]
	v_mul_f64 v[172:173], v[144:145], s[38:39]
	v_add_f64 v[20:21], v[100:101], v[20:21]
	v_fma_f64 v[22:23], s[22:23], v[218:219], v[246:247]
	v_mul_f64 v[168:169], v[2:3], s[24:25]
	v_add_f64 v[146:147], v[146:147], v[18:19]
	v_mul_f64 v[190:191], v[90:91], s[18:19]
	v_fma_f64 v[18:19], v[238:239], s[18:19], -v[172:173]
	s_mov_b32 s37, 0x3fddbe06
	s_mov_b32 s36, s44
	v_add_f64 v[22:23], v[102:103], v[22:23]
	v_mul_f64 v[2:3], v[0:1], s[26:27]
	v_fma_f64 v[0:1], v[216:217], s[26:27], -v[168:169]
	v_add_f64 v[20:21], v[18:19], v[20:21]
	v_fma_f64 v[18:19], s[38:39], v[240:241], v[190:191]
	v_mul_f64 v[170:171], v[144:145], s[36:37]
	v_add_f64 v[0:1], v[100:101], v[0:1]
	v_fma_f64 v[88:89], s[24:25], v[218:219], v[2:3]
	v_accvgpr_write_b32 a86, v148
	v_add_f64 v[22:23], v[18:19], v[22:23]
	v_mul_f64 v[18:19], v[90:91], s[0:1]
	v_fma_f64 v[90:91], v[238:239], s[0:1], -v[170:171]
	v_add_f64 v[144:145], v[114:115], -v[122:123]
	v_add_f64 v[88:89], v[102:103], v[88:89]
	v_accvgpr_write_b32 a87, v149
	v_add_f64 v[0:1], v[90:91], v[0:1]
	v_fma_f64 v[90:91], s[36:37], v[240:241], v[18:19]
	v_mul_f64 v[148:149], v[144:145], s[28:29]
	v_add_f64 v[88:89], v[90:91], v[88:89]
	v_add_f64 v[252:253], v[112:113], v[120:121]
	;; [unrolled: 1-line block ×3, first 2 shown]
	v_accvgpr_write_b32 a58, v148
	v_add_f64 v[254:255], v[112:113], -v[120:121]
	v_mul_f64 v[150:151], v[90:91], s[18:19]
	v_accvgpr_write_b32 a59, v149
	v_fma_f64 v[148:149], v[252:253], s[18:19], -v[148:149]
	v_add_f64 v[4:5], v[148:149], v[4:5]
	v_fma_f64 v[148:149], s[28:29], v[254:255], v[150:151]
	v_add_f64 v[148:149], v[148:149], v[6:7]
	v_mul_f64 v[6:7], v[144:145], s[24:25]
	v_accvgpr_write_b32 a62, v150
	v_accvgpr_write_b32 a69, v7
	;; [unrolled: 1-line block ×3, first 2 shown]
	v_mul_f64 v[150:151], v[90:91], s[26:27]
	v_accvgpr_write_b32 a68, v6
	v_fma_f64 v[6:7], v[252:253], s[26:27], -v[6:7]
	v_add_f64 v[8:9], v[6:7], v[8:9]
	v_fma_f64 v[6:7], s[24:25], v[254:255], v[150:151]
	s_mov_b32 s47, 0x3fedeba7
	s_mov_b32 s46, s30
	v_add_f64 v[10:11], v[6:7], v[10:11]
	v_mul_f64 v[6:7], v[144:145], s[46:47]
	v_accvgpr_write_b32 a70, v150
	v_accvgpr_write_b32 a79, v7
	;; [unrolled: 1-line block ×3, first 2 shown]
	v_mul_f64 v[150:151], v[90:91], s[34:35]
	v_accvgpr_write_b32 a78, v6
	v_fma_f64 v[6:7], v[252:253], s[34:35], -v[6:7]
	v_add_f64 v[12:13], v[6:7], v[12:13]
	v_fma_f64 v[6:7], s[46:47], v[254:255], v[150:151]
	v_add_f64 v[14:15], v[6:7], v[14:15]
	v_mul_f64 v[6:7], v[144:145], s[36:37]
	v_accvgpr_write_b32 a93, v7
	v_accvgpr_write_b32 a84, v150
	v_mul_f64 v[178:179], v[90:91], s[0:1]
	v_accvgpr_write_b32 a92, v6
	v_fma_f64 v[6:7], v[252:253], s[0:1], -v[6:7]
	v_accvgpr_write_b32 a85, v151
	v_add_f64 v[150:151], v[6:7], v[16:17]
	v_fma_f64 v[6:7], s[36:37], v[254:255], v[178:179]
	v_add_f64 v[146:147], v[6:7], v[146:147]
	v_mul_f64 v[6:7], v[144:145], s[16:17]
	v_mul_f64 v[16:17], v[90:91], s[6:7]
	v_fma_f64 v[152:153], v[252:253], s[6:7], -v[6:7]
	v_add_f64 v[152:153], v[152:153], v[20:21]
	v_fma_f64 v[20:21], s[16:17], v[254:255], v[16:17]
	v_mul_f64 v[200:201], v[144:145], s[22:23]
	v_add_f64 v[22:23], v[20:21], v[22:23]
	v_mul_f64 v[204:205], v[90:91], s[20:21]
	v_fma_f64 v[20:21], v[252:253], s[20:21], -v[200:201]
	v_add_f64 v[0:1], v[20:21], v[0:1]
	v_fma_f64 v[20:21], s[22:23], v[254:255], v[204:205]
	v_add_f64 v[144:145], v[118:119], -v[126:127]
	v_add_f64 v[88:89], v[20:21], v[88:89]
	v_mul_f64 v[20:21], v[144:145], s[30:31]
	v_add_f64 v[182:183], v[116:117], v[124:125]
	v_add_f64 v[90:91], v[118:119], v[126:127]
	v_accvgpr_write_b32 a73, v21
	v_add_f64 v[186:187], v[116:117], -v[124:125]
	v_mul_f64 v[154:155], v[90:91], s[34:35]
	v_accvgpr_write_b32 a72, v20
	v_fma_f64 v[20:21], v[182:183], s[34:35], -v[20:21]
	v_add_f64 v[4:5], v[20:21], v[4:5]
	v_fma_f64 v[20:21], s[30:31], v[186:187], v[154:155]
	v_add_f64 v[148:149], v[20:21], v[148:149]
	v_mul_f64 v[20:21], v[144:145], s[42:43]
	v_accvgpr_write_b32 a83, v21
	v_accvgpr_write_b32 a76, v154
	v_mul_f64 v[156:157], v[90:91], s[20:21]
	v_accvgpr_write_b32 a82, v20
	v_fma_f64 v[20:21], v[182:183], s[20:21], -v[20:21]
	v_accvgpr_write_b32 a77, v155
	v_add_f64 v[154:155], v[20:21], v[8:9]
	v_fma_f64 v[8:9], s[42:43], v[186:187], v[156:157]
	v_add_f64 v[10:11], v[8:9], v[10:11]
	v_mul_f64 v[8:9], v[144:145], s[36:37]
	v_accvgpr_write_b32 a95, v9
	v_mul_f64 v[248:249], v[90:91], s[0:1]
	v_accvgpr_write_b32 a94, v8
	v_fma_f64 v[8:9], v[182:183], s[0:1], -v[8:9]
	v_add_f64 v[12:13], v[8:9], v[12:13]
	v_fma_f64 v[8:9], s[36:37], v[186:187], v[248:249]
	v_mul_f64 v[184:185], v[144:145], s[28:29]
	v_add_f64 v[14:15], v[8:9], v[14:15]
	v_mul_f64 v[8:9], v[90:91], s[18:19]
	v_fma_f64 v[20:21], v[182:183], s[18:19], -v[184:185]
	v_add_f64 v[150:151], v[20:21], v[150:151]
	v_fma_f64 v[20:21], s[28:29], v[186:187], v[8:9]
	s_mov_b32 s49, 0x3fcea1e5
	s_mov_b32 s48, s24
	v_accvgpr_write_b32 a88, v156
	v_add_f64 v[146:147], v[20:21], v[146:147]
	v_mul_f64 v[20:21], v[144:145], s[48:49]
	v_accvgpr_write_b32 a89, v157
	v_mul_f64 v[202:203], v[90:91], s[26:27]
	v_fma_f64 v[156:157], v[182:183], s[26:27], -v[20:21]
	s_mov_b32 s51, 0x3fea55e2
	s_mov_b32 s50, s16
	v_add_f64 v[152:153], v[156:157], v[152:153]
	v_fma_f64 v[156:157], s[48:49], v[186:187], v[202:203]
	v_mul_f64 v[210:211], v[144:145], s[50:51]
	v_add_f64 v[156:157], v[156:157], v[22:23]
	v_fma_f64 v[22:23], v[182:183], s[6:7], -v[210:211]
	v_add_f64 v[160:161], v[130:131], -v[134:135]
	v_mul_f64 v[220:221], v[90:91], s[6:7]
	v_add_f64 v[144:145], v[22:23], v[0:1]
	v_mul_f64 v[22:23], v[160:161], s[22:23]
	v_fma_f64 v[0:1], s[50:51], v[186:187], v[220:221]
	v_add_f64 v[192:193], v[128:129], v[132:133]
	v_add_f64 v[158:159], v[130:131], v[134:135]
	v_accvgpr_write_b32 a91, v23
	v_add_f64 v[88:89], v[0:1], v[88:89]
	v_add_f64 v[0:1], v[128:129], -v[132:133]
	v_mul_f64 v[90:91], v[158:159], s[20:21]
	v_accvgpr_write_b32 a90, v22
	v_fma_f64 v[22:23], v[192:193], s[20:21], -v[22:23]
	v_add_f64 v[4:5], v[22:23], v[4:5]
	v_fma_f64 v[22:23], s[22:23], v[0:1], v[90:91]
	v_mul_f64 v[250:251], v[160:161], s[38:39]
	v_add_f64 v[148:149], v[22:23], v[148:149]
	v_mul_f64 v[176:177], v[158:159], s[18:19]
	v_fma_f64 v[22:23], v[192:193], s[18:19], -v[250:251]
	v_accvgpr_write_b32 a97, v91
	v_add_f64 v[154:155], v[22:23], v[154:155]
	v_fma_f64 v[22:23], s[38:39], v[0:1], v[176:177]
	v_mul_f64 v[188:189], v[160:161], s[16:17]
	v_accvgpr_write_b32 a96, v90
	v_add_f64 v[10:11], v[22:23], v[10:11]
	v_mul_f64 v[90:91], v[158:159], s[6:7]
	v_fma_f64 v[22:23], v[192:193], s[6:7], -v[188:189]
	v_add_f64 v[198:199], v[22:23], v[12:13]
	v_fma_f64 v[12:13], s[16:17], v[0:1], v[90:91]
	v_add_f64 v[208:209], v[12:13], v[14:15]
	v_mul_f64 v[12:13], v[160:161], s[48:49]
	v_mul_f64 v[22:23], v[158:159], s[26:27]
	v_fma_f64 v[14:15], v[192:193], s[26:27], -v[12:13]
	v_add_f64 v[150:151], v[14:15], v[150:151]
	v_fma_f64 v[14:15], s[48:49], v[0:1], v[22:23]
	v_mul_f64 v[206:207], v[160:161], s[36:37]
	v_add_f64 v[146:147], v[14:15], v[146:147]
	v_mul_f64 v[212:213], v[158:159], s[0:1]
	v_fma_f64 v[14:15], v[192:193], s[0:1], -v[206:207]
	v_add_f64 v[152:153], v[14:15], v[152:153]
	v_fma_f64 v[14:15], s[36:37], v[0:1], v[212:213]
	v_mul_f64 v[222:223], v[160:161], s[30:31]
	v_add_f64 v[228:229], v[14:15], v[156:157]
	v_mul_f64 v[226:227], v[158:159], s[34:35]
	v_fma_f64 v[14:15], v[192:193], s[34:35], -v[222:223]
	v_add_f64 v[144:145], v[14:15], v[144:145]
	v_fma_f64 v[14:15], s[30:31], v[0:1], v[226:227]
	v_add_f64 v[236:237], v[142:143], -v[138:139]
	v_add_f64 v[234:235], v[14:15], v[88:89]
	v_add_f64 v[14:15], v[140:141], v[136:137]
	;; [unrolled: 1-line block ×3, first 2 shown]
	v_mul_f64 v[174:175], v[236:237], s[24:25]
	v_add_f64 v[194:195], v[140:141], -v[136:137]
	v_mul_f64 v[180:181], v[230:231], s[26:27]
	v_fma_f64 v[88:89], v[14:15], s[26:27], -v[174:175]
	v_add_f64 v[164:165], v[88:89], v[4:5]
	v_fma_f64 v[4:5], s[24:25], v[194:195], v[180:181]
	v_mul_f64 v[88:89], v[236:237], s[36:37]
	v_add_f64 v[166:167], v[4:5], v[148:149]
	v_mul_f64 v[4:5], v[230:231], s[0:1]
	v_fma_f64 v[148:149], v[14:15], s[0:1], -v[88:89]
	v_add_f64 v[160:161], v[148:149], v[154:155]
	v_fma_f64 v[148:149], s[36:37], v[194:195], v[4:5]
	v_add_f64 v[162:163], v[148:149], v[10:11]
	v_mul_f64 v[10:11], v[236:237], s[22:23]
	v_mul_f64 v[196:197], v[230:231], s[20:21]
	v_fma_f64 v[148:149], v[14:15], s[20:21], -v[10:11]
	v_add_f64 v[156:157], v[148:149], v[198:199]
	v_fma_f64 v[148:149], s[22:23], v[194:195], v[196:197]
	v_mul_f64 v[198:199], v[236:237], s[50:51]
	v_add_f64 v[158:159], v[148:149], v[208:209]
	v_mul_f64 v[208:209], v[230:231], s[6:7]
	v_fma_f64 v[148:149], v[14:15], s[6:7], -v[198:199]
	v_add_f64 v[148:149], v[148:149], v[150:151]
	v_fma_f64 v[150:151], s[50:51], v[194:195], v[208:209]
	v_mul_f64 v[214:215], v[236:237], s[30:31]
	v_add_f64 v[150:151], v[150:151], v[146:147]
	v_mul_f64 v[224:225], v[230:231], s[34:35]
	v_fma_f64 v[146:147], v[14:15], s[34:35], -v[214:215]
	v_add_f64 v[152:153], v[146:147], v[152:153]
	v_fma_f64 v[146:147], s[30:31], v[194:195], v[224:225]
	v_add_f64 v[154:155], v[146:147], v[228:229]
	v_mul_f64 v[228:229], v[236:237], s[38:39]
	v_mul_f64 v[230:231], v[230:231], s[18:19]
	v_fma_f64 v[146:147], v[14:15], s[18:19], -v[228:229]
	v_add_f64 v[144:145], v[146:147], v[144:145]
	v_fma_f64 v[146:147], s[38:39], v[194:195], v[230:231]
	v_add_f64 v[146:147], v[146:147], v[234:235]
	s_barrier
	s_and_saveexec_b64 s[40:41], s[4:5]
	s_cbranch_execz .LBB0_17
; %bb.16:
	v_mul_f64 v[234:235], v[194:195], s[38:39]
	v_add_f64 v[230:231], v[230:231], -v[234:235]
	v_mul_f64 v[234:235], v[0:1], s[30:31]
	v_add_f64 v[226:227], v[226:227], -v[234:235]
	;; [unrolled: 2-line block ×6, first 2 shown]
	v_add_f64 v[2:3], v[102:103], v[2:3]
	v_add_f64 v[2:3], v[18:19], v[2:3]
	;; [unrolled: 1-line block ×5, first 2 shown]
	v_mul_f64 v[226:227], v[192:193], s[34:35]
	v_add_f64 v[222:223], v[226:227], v[222:223]
	v_mul_f64 v[226:227], v[182:183], s[6:7]
	v_add_f64 v[210:211], v[226:227], v[210:211]
	;; [unrolled: 2-line block ×5, first 2 shown]
	v_add_f64 v[168:169], v[100:101], v[168:169]
	v_add_f64 v[168:169], v[170:171], v[168:169]
	;; [unrolled: 1-line block ×3, first 2 shown]
	v_mul_f64 v[2:3], v[216:217], s[0:1]
	v_mul_f64 v[220:221], v[14:15], s[18:19]
	v_add_f64 v[168:169], v[210:211], v[168:169]
	v_accvgpr_write_b32 a99, v3
	v_add_f64 v[220:221], v[220:221], v[228:229]
	v_add_f64 v[168:169], v[222:223], v[168:169]
	v_accvgpr_write_b32 a98, v2
	v_mul_f64 v[2:3], v[218:219], s[44:45]
	v_mul_f64 v[226:227], v[216:217], s[6:7]
	;; [unrolled: 1-line block ×6, first 2 shown]
	v_add_f64 v[170:171], v[230:231], v[18:19]
	v_add_f64 v[168:169], v[220:221], v[168:169]
	v_mul_f64 v[220:221], v[218:219], s[30:31]
	v_mul_f64 v[18:19], v[216:217], s[20:21]
	v_mul_f64 v[216:217], v[218:219], s[22:23]
	v_mul_f64 v[218:219], v[194:195], s[30:31]
	v_add_f64 v[218:219], v[224:225], -v[218:219]
	v_mul_f64 v[224:225], v[0:1], s[36:37]
	v_add_f64 v[212:213], v[212:213], -v[224:225]
	v_mul_f64 v[224:225], v[186:187], s[48:49]
	;; [unrolled: 2-line block ×4, first 2 shown]
	v_add_f64 v[216:217], v[246:247], -v[216:217]
	v_add_f64 v[190:191], v[190:191], -v[224:225]
	v_add_f64 v[216:217], v[102:103], v[216:217]
	v_add_f64 v[190:191], v[190:191], v[216:217]
	;; [unrolled: 1-line block ×3, first 2 shown]
	v_accvgpr_write_b32 a101, v3
	v_add_f64 v[16:17], v[202:203], v[16:17]
	v_accvgpr_write_b32 a100, v2
	v_add_f64 v[16:17], v[212:213], v[16:17]
	v_mul_f64 v[212:213], v[14:15], s[34:35]
	v_accvgpr_read_b32 v2, a80
	v_add_f64 v[212:213], v[212:213], v[214:215]
	v_mul_f64 v[214:215], v[192:193], s[0:1]
	v_accvgpr_read_b32 v3, a81
	v_add_f64 v[206:207], v[214:215], v[206:207]
	v_mul_f64 v[214:215], v[182:183], s[26:27]
	v_add_f64 v[18:19], v[18:19], v[2:3]
	v_accvgpr_read_b32 v2, a86
	v_add_f64 v[20:21], v[214:215], v[20:21]
	v_mul_f64 v[214:215], v[252:253], s[6:7]
	v_mul_f64 v[236:237], v[240:241], s[42:43]
	v_accvgpr_read_b32 v3, a87
	v_add_f64 v[6:7], v[214:215], v[6:7]
	v_mul_f64 v[214:215], v[238:239], s[18:19]
	v_add_f64 v[236:237], v[2:3], -v[236:237]
	v_accvgpr_read_b32 v2, a64
	v_add_f64 v[172:173], v[214:215], v[172:173]
	v_add_f64 v[18:19], v[100:101], v[18:19]
	v_accvgpr_read_b32 v3, a65
	v_accvgpr_read_b32 v205, a75
	v_mul_f64 v[234:235], v[238:239], s[20:21]
	v_add_f64 v[18:19], v[172:173], v[18:19]
	v_mul_f64 v[246:247], v[194:195], s[50:51]
	v_add_f64 v[220:221], v[2:3], -v[220:221]
	v_accvgpr_read_b32 v204, a74
	v_add_f64 v[6:7], v[6:7], v[18:19]
	v_add_f64 v[18:19], v[218:219], v[16:17]
	v_mul_f64 v[218:219], v[254:255], s[36:37]
	v_add_f64 v[208:209], v[208:209], -v[246:247]
	v_mul_f64 v[246:247], v[0:1], s[48:49]
	v_add_f64 v[220:221], v[102:103], v[220:221]
	v_add_f64 v[234:235], v[234:235], v[204:205]
	v_accvgpr_read_b32 v205, a55
	v_add_f64 v[6:7], v[20:21], v[6:7]
	v_add_f64 v[22:23], v[22:23], -v[246:247]
	v_mul_f64 v[246:247], v[186:187], s[28:29]
	v_add_f64 v[178:179], v[178:179], -v[218:219]
	v_add_f64 v[220:221], v[236:237], v[220:221]
	v_accvgpr_read_b32 v204, a54
	v_add_f64 v[6:7], v[206:207], v[6:7]
	v_add_f64 v[8:9], v[8:9], -v[246:247]
	v_add_f64 v[178:179], v[178:179], v[220:221]
	v_accvgpr_read_b32 v2, a92
	v_add_f64 v[222:223], v[222:223], v[204:205]
	v_add_f64 v[16:17], v[212:213], v[6:7]
	v_mul_f64 v[6:7], v[252:253], s[0:1]
	v_add_f64 v[8:9], v[8:9], v[178:179]
	v_accvgpr_read_b32 v3, a93
	v_add_f64 v[222:223], v[100:101], v[222:223]
	v_mul_f64 v[224:225], v[238:239], s[6:7]
	v_mul_f64 v[230:231], v[240:241], s[16:17]
	;; [unrolled: 1-line block ×13, first 2 shown]
	v_add_f64 v[8:9], v[22:23], v[8:9]
	v_mul_f64 v[22:23], v[14:15], s[6:7]
	v_add_f64 v[6:7], v[6:7], v[2:3]
	v_add_f64 v[222:223], v[234:235], v[222:223]
	;; [unrolled: 1-line block ×3, first 2 shown]
	v_mul_f64 v[198:199], v[192:193], s[26:27]
	v_add_f64 v[182:183], v[182:183], v[184:185]
	v_add_f64 v[6:7], v[6:7], v[222:223]
	;; [unrolled: 1-line block ×4, first 2 shown]
	v_mul_f64 v[172:173], v[254:255], s[28:29]
	v_mul_f64 v[20:21], v[254:255], s[24:25]
	;; [unrolled: 1-line block ×6, first 2 shown]
	v_add_f64 v[6:7], v[12:13], v[6:7]
	v_add_f64 v[6:7], v[22:23], v[6:7]
	v_add_f64 v[22:23], v[248:249], -v[186:187]
	v_accvgpr_read_b32 v187, a49
	v_mul_f64 v[178:179], v[0:1], s[22:23]
	v_mul_f64 v[184:185], v[0:1], s[38:39]
	;; [unrolled: 1-line block ×3, first 2 shown]
	v_accvgpr_read_b32 v183, a67
	v_accvgpr_read_b32 v186, a48
	v_add_f64 v[0:1], v[90:91], -v[0:1]
	v_accvgpr_read_b32 v91, a85
	v_accvgpr_read_b32 v182, a66
	v_add_f64 v[186:187], v[186:187], -v[210:211]
	v_accvgpr_read_b32 v90, a84
	v_add_f64 v[182:183], v[182:183], -v[214:215]
	v_add_f64 v[186:187], v[102:103], v[186:187]
	v_add_f64 v[90:91], v[90:91], -v[212:213]
	v_add_f64 v[182:183], v[182:183], v[186:187]
	v_add_f64 v[90:91], v[90:91], v[182:183]
	v_accvgpr_read_b32 v183, a45
	v_accvgpr_write_b32 a5, v242
	v_accvgpr_write_b32 a6, v243
	v_mul_f64 v[242:243], v[194:195], s[24:25]
	v_mul_f64 v[234:235], v[194:195], s[36:37]
	;; [unrolled: 1-line block ×3, first 2 shown]
	v_add_f64 v[22:23], v[22:23], v[90:91]
	v_accvgpr_read_b32 v91, a61
	v_accvgpr_read_b32 v182, a44
	v_mul_f64 v[2:3], v[14:15], s[26:27]
	v_accvgpr_write_b32 a1, v245
	v_mul_f64 v[244:245], v[14:15], s[0:1]
	v_mul_f64 v[14:15], v[14:15], s[20:21]
	v_add_f64 v[12:13], v[196:197], -v[194:195]
	v_add_f64 v[0:1], v[0:1], v[22:23]
	v_accvgpr_read_b32 v22, a78
	v_accvgpr_read_b32 v90, a60
	v_add_f64 v[182:183], v[200:201], v[182:183]
	v_add_f64 v[12:13], v[12:13], v[0:1]
	;; [unrolled: 1-line block ×3, first 2 shown]
	v_accvgpr_read_b32 v14, a94
	v_accvgpr_read_b32 v23, a79
	v_add_f64 v[90:91], v[202:203], v[90:91]
	v_add_f64 v[182:183], v[100:101], v[182:183]
	v_accvgpr_read_b32 v15, a95
	v_add_f64 v[22:23], v[206:207], v[22:23]
	v_add_f64 v[90:91], v[90:91], v[182:183]
	;; [unrolled: 1-line block ×5, first 2 shown]
	v_accvgpr_read_b32 v22, a70
	v_accvgpr_read_b32 v23, a71
	;; [unrolled: 1-line block ×3, first 2 shown]
	v_mul_f64 v[220:221], v[192:193], s[20:21]
	v_mul_f64 v[198:199], v[192:193], s[18:19]
	;; [unrolled: 1-line block ×3, first 2 shown]
	v_add_f64 v[20:21], v[22:23], -v[20:21]
	v_accvgpr_read_b32 v22, a56
	v_accvgpr_read_b32 v90, a42
	v_add_f64 v[10:11], v[192:193], v[188:189]
	v_accvgpr_read_b32 v23, a57
	v_add_f64 v[90:91], v[90:91], -v[228:229]
	v_add_f64 v[10:11], v[10:11], v[14:15]
	v_accvgpr_read_b32 v14, a88
	v_add_f64 v[22:23], v[22:23], -v[190:191]
	v_add_f64 v[90:91], v[102:103], v[90:91]
	v_accvgpr_read_b32 v15, a89
	v_add_f64 v[22:23], v[22:23], v[90:91]
	v_add_f64 v[14:15], v[14:15], -v[254:255]
	v_add_f64 v[20:21], v[20:21], v[22:23]
	v_add_f64 v[10:11], v[0:1], v[10:11]
	v_add_f64 v[0:1], v[4:5], -v[234:235]
	v_add_f64 v[4:5], v[176:177], -v[184:185]
	v_add_f64 v[14:15], v[14:15], v[20:21]
	v_add_f64 v[4:5], v[4:5], v[14:15]
	v_accvgpr_read_b32 v91, a41
	v_add_f64 v[22:23], v[0:1], v[4:5]
	v_add_f64 v[0:1], v[244:245], v[88:89]
	v_accvgpr_read_b32 v89, a53
	v_accvgpr_read_b32 v90, a40
	v_accvgpr_read_b32 v20, a68
	v_accvgpr_read_b32 v88, a52
	v_add_f64 v[90:91], v[226:227], v[90:91]
	v_accvgpr_read_b32 v21, a69
	v_add_f64 v[88:89], v[216:217], v[88:89]
	v_add_f64 v[90:91], v[100:101], v[90:91]
	;; [unrolled: 1-line block ×5, first 2 shown]
	v_accvgpr_read_b32 v89, a63
	v_accvgpr_read_b32 v14, a82
	;; [unrolled: 1-line block ×4, first 2 shown]
	v_add_f64 v[88:89], v[88:89], -v[172:173]
	v_accvgpr_read_b32 v173, a39
	v_accvgpr_read_b32 v177, a101
	v_add_f64 v[14:15], v[252:253], v[14:15]
	v_accvgpr_read_b32 v91, a51
	v_accvgpr_read_b32 v172, a38
	;; [unrolled: 1-line block ×3, first 2 shown]
	v_add_f64 v[4:5], v[198:199], v[250:251]
	v_add_f64 v[14:15], v[14:15], v[20:21]
	v_accvgpr_read_b32 v90, a50
	v_add_f64 v[172:173], v[172:173], -v[176:177]
	v_add_f64 v[4:5], v[4:5], v[14:15]
	v_accvgpr_read_b32 v14, a76
	v_add_f64 v[90:91], v[90:91], -v[230:231]
	v_add_f64 v[172:173], v[102:103], v[172:173]
	v_add_f64 v[20:21], v[0:1], v[4:5]
	v_accvgpr_read_b32 v4, a96
	v_accvgpr_read_b32 v15, a77
	v_add_f64 v[90:91], v[90:91], v[172:173]
	v_accvgpr_read_b32 v5, a97
	v_add_f64 v[14:15], v[14:15], -v[218:219]
	v_add_f64 v[88:89], v[88:89], v[90:91]
	v_add_f64 v[4:5], v[4:5], -v[178:179]
	v_add_f64 v[14:15], v[14:15], v[88:89]
	;; [unrolled: 2-line block ×3, first 2 shown]
	v_add_f64 v[4:5], v[0:1], v[4:5]
	v_add_f64 v[0:1], v[2:3], v[174:175]
	v_accvgpr_read_b32 v173, a37
	v_accvgpr_read_b32 v175, a99
	;; [unrolled: 1-line block ×7, first 2 shown]
	v_add_f64 v[172:173], v[174:175], v[172:173]
	v_accvgpr_read_b32 v14, a72
	v_accvgpr_read_b32 v88, a58
	v_add_f64 v[90:91], v[224:225], v[90:91]
	v_add_f64 v[172:173], v[100:101], v[172:173]
	v_accvgpr_read_b32 v2, a90
	v_accvgpr_read_b32 v15, a73
	v_add_f64 v[88:89], v[238:239], v[88:89]
	v_add_f64 v[90:91], v[90:91], v[172:173]
	v_accvgpr_read_b32 v3, a91
	v_add_f64 v[14:15], v[246:247], v[14:15]
	v_add_f64 v[88:89], v[88:89], v[90:91]
	;; [unrolled: 1-line block ×30, first 2 shown]
	v_accvgpr_read_b32 v0, a3
	v_accvgpr_read_b32 v1, a4
	;; [unrolled: 1-line block ×5, first 2 shown]
	v_lshl_add_u32 v0, v1, 4, v0
	v_add_f64 v[8:9], v[208:209], v[8:9]
	ds_write_b128 v0, v[88:91]
	ds_write_b128 v0, v[2:5] offset:16
	ds_write_b128 v0, v[20:23] offset:32
	;; [unrolled: 1-line block ×12, first 2 shown]
.LBB0_17:
	s_or_b64 exec, exec, s[40:41]
	s_waitcnt lgkmcnt(0)
	s_barrier
	ds_read_b128 v[92:95], v232
	ds_read_b128 v[116:119], v232 offset:2288
	ds_read_b128 v[112:115], v232 offset:4576
	;; [unrolled: 1-line block ×6, first 2 shown]
	s_and_saveexec_b64 s[0:1], s[2:3]
	s_cbranch_execz .LBB0_19
; %bb.18:
	ds_read_b128 v[144:147], v232 offset:1456
	ds_read_b128 v[152:155], v232 offset:3744
	;; [unrolled: 1-line block ×7, first 2 shown]
.LBB0_19:
	s_or_b64 exec, exec, s[0:1]
	s_waitcnt lgkmcnt(5)
	v_mul_f64 v[0:1], v[38:39], v[118:119]
	s_waitcnt lgkmcnt(4)
	v_mul_f64 v[4:5], v[30:31], v[114:115]
	;; [unrolled: 2-line block ×4, first 2 shown]
	v_fmac_f64_e32 v[0:1], v[36:37], v[116:117]
	v_mul_f64 v[2:3], v[38:39], v[116:117]
	v_fmac_f64_e32 v[4:5], v[28:29], v[112:113]
	v_mul_f64 v[6:7], v[30:31], v[112:113]
	v_mul_f64 v[8:9], v[34:35], v[110:111]
	;; [unrolled: 1-line block ×4, first 2 shown]
	v_fmac_f64_e32 v[16:17], v[44:45], v[100:101]
	v_mul_f64 v[18:19], v[46:47], v[100:101]
	v_fmac_f64_e32 v[20:21], v[40:41], v[96:97]
	v_mul_f64 v[22:23], v[42:43], v[96:97]
	v_fma_f64 v[2:3], v[36:37], v[118:119], -v[2:3]
	v_fma_f64 v[6:7], v[28:29], v[114:115], -v[6:7]
	v_fmac_f64_e32 v[8:9], v[32:33], v[108:109]
	v_mul_f64 v[10:11], v[34:35], v[108:109]
	v_fmac_f64_e32 v[12:13], v[24:25], v[104:105]
	v_fma_f64 v[14:15], v[24:25], v[106:107], -v[14:15]
	v_fma_f64 v[18:19], v[44:45], v[102:103], -v[18:19]
	;; [unrolled: 1-line block ×3, first 2 shown]
	v_add_f64 v[24:25], v[0:1], v[20:21]
	v_add_f64 v[0:1], v[0:1], -v[20:21]
	v_add_f64 v[20:21], v[4:5], v[16:17]
	v_fma_f64 v[10:11], v[32:33], v[110:111], -v[10:11]
	v_add_f64 v[26:27], v[2:3], v[22:23]
	v_add_f64 v[2:3], v[2:3], -v[22:23]
	v_add_f64 v[22:23], v[6:7], v[18:19]
	v_add_f64 v[4:5], v[4:5], -v[16:17]
	;; [unrolled: 2-line block ×5, first 2 shown]
	v_add_f64 v[14:15], v[22:23], v[26:27]
	v_add_f64 v[32:33], v[8:9], v[4:5]
	;; [unrolled: 1-line block ×3, first 2 shown]
	v_add_f64 v[28:29], v[20:21], -v[24:25]
	v_add_f64 v[24:25], v[24:25], -v[16:17]
	;; [unrolled: 1-line block ×3, first 2 shown]
	v_add_f64 v[34:35], v[10:11], v[6:7]
	v_add_f64 v[36:37], v[8:9], -v[4:5]
	v_add_f64 v[8:9], v[0:1], -v[8:9]
	;; [unrolled: 1-line block ×3, first 2 shown]
	v_add_f64 v[14:15], v[18:19], v[14:15]
	v_add_f64 v[16:17], v[32:33], v[0:1]
	;; [unrolled: 1-line block ×3, first 2 shown]
	s_mov_b32 s16, 0x37e14327
	s_mov_b32 s18, 0x36b3c0b5
	;; [unrolled: 1-line block ×4, first 2 shown]
	v_add_f64 v[30:31], v[22:23], -v[26:27]
	v_add_f64 v[26:27], v[26:27], -v[18:19]
	;; [unrolled: 1-line block ×6, first 2 shown]
	v_add_f64 v[18:19], v[34:35], v[2:3]
	v_add_f64 v[2:3], v[94:95], v[14:15]
	s_mov_b32 s17, 0x3fe948f6
	s_mov_b32 s19, 0x3fac98ee
	;; [unrolled: 1-line block ×5, first 2 shown]
	v_mov_b64_e32 v[44:45], v[0:1]
	s_mov_b32 s6, 0x5476071b
	s_mov_b32 s30, 0xb247c609
	v_mul_f64 v[24:25], v[24:25], s[16:17]
	v_mul_f64 v[32:33], v[20:21], s[18:19]
	;; [unrolled: 1-line block ×3, first 2 shown]
	s_mov_b32 s21, 0x3fe11646
	v_mul_f64 v[40:41], v[4:5], s[0:1]
	v_mul_f64 v[42:43], v[6:7], s[0:1]
	v_fmac_f64_e32 v[44:45], s[28:29], v[12:13]
	v_mov_b64_e32 v[12:13], v[2:3]
	s_mov_b32 s7, 0x3fe77f67
	s_mov_b32 s23, 0xbfe77f67
	;; [unrolled: 1-line block ×7, first 2 shown]
	v_mul_f64 v[26:27], v[26:27], s[16:17]
	v_mul_f64 v[36:37], v[36:37], s[20:21]
	;; [unrolled: 1-line block ×3, first 2 shown]
	v_fmac_f64_e32 v[12:13], s[28:29], v[14:15]
	v_fma_f64 v[14:15], v[28:29], s[6:7], -v[32:33]
	v_fma_f64 v[32:33], v[30:31], s[6:7], -v[34:35]
	;; [unrolled: 1-line block ×5, first 2 shown]
	s_mov_b32 s25, 0xbfdc38aa
	v_fmac_f64_e32 v[24:25], s[18:19], v[20:21]
	v_fma_f64 v[20:21], v[30:31], s[22:23], -v[26:27]
	v_fmac_f64_e32 v[26:27], s[18:19], v[22:23]
	v_fma_f64 v[22:23], v[4:5], s[0:1], -v[36:37]
	;; [unrolled: 2-line block ×3, first 2 shown]
	v_fmac_f64_e32 v[38:39], s[30:31], v[10:11]
	v_add_f64 v[28:29], v[28:29], v[44:45]
	v_fmac_f64_e32 v[40:41], s[24:25], v[18:19]
	v_add_f64 v[24:25], v[24:25], v[44:45]
	v_add_f64 v[26:27], v[26:27], v[12:13]
	;; [unrolled: 1-line block ×5, first 2 shown]
	v_fmac_f64_e32 v[36:37], s[24:25], v[16:17]
	v_fmac_f64_e32 v[38:39], s[24:25], v[18:19]
	;; [unrolled: 1-line block ×5, first 2 shown]
	v_add_f64 v[8:9], v[40:41], v[28:29]
	v_add_f64 v[20:21], v[28:29], -v[40:41]
	v_accvgpr_read_b32 v28, a7
	v_add_f64 v[4:5], v[38:39], v[24:25]
	v_add_f64 v[6:7], v[26:27], -v[36:37]
	v_add_f64 v[10:11], v[44:45], -v[34:35]
	;; [unrolled: 1-line block ×3, first 2 shown]
	v_add_f64 v[14:15], v[22:23], v[32:33]
	v_add_f64 v[16:17], v[30:31], v[42:43]
	v_add_f64 v[18:19], v[32:33], -v[22:23]
	v_add_f64 v[22:23], v[34:35], v[44:45]
	v_add_f64 v[24:25], v[24:25], -v[38:39]
	v_add_f64 v[26:27], v[36:37], v[26:27]
	s_barrier
	ds_write_b128 v28, v[0:3]
	ds_write_b128 v28, v[4:7] offset:208
	ds_write_b128 v28, v[8:11] offset:416
	;; [unrolled: 1-line block ×6, first 2 shown]
	s_and_saveexec_b64 s[34:35], s[2:3]
	s_cbranch_execz .LBB0_21
; %bb.20:
	v_accvgpr_read_b32 v33, a23
	v_accvgpr_read_b32 v99, a31
	v_accvgpr_read_b32 v103, a35
	v_accvgpr_read_b32 v45, a11
	v_accvgpr_read_b32 v91, a15
	v_accvgpr_read_b32 v39, a19
	v_accvgpr_read_b32 v95, a27
	v_accvgpr_read_b32 v32, a22
	v_accvgpr_read_b32 v98, a30
	v_accvgpr_read_b32 v102, a34
	v_accvgpr_read_b32 v44, a10
	v_accvgpr_read_b32 v90, a14
	v_accvgpr_read_b32 v38, a18
	v_accvgpr_read_b32 v94, a26
	v_accvgpr_read_b32 v31, a21
	v_accvgpr_read_b32 v30, a20
	v_mul_f64 v[0:1], v[32:33], v[154:155]
	v_accvgpr_read_b32 v97, a29
	v_accvgpr_read_b32 v96, a28
	;; [unrolled: 1-line block ×4, first 2 shown]
	v_mul_f64 v[4:5], v[98:99], v[102:103]
	v_accvgpr_read_b32 v43, a9
	v_accvgpr_read_b32 v42, a8
	v_mul_f64 v[10:11], v[44:45], v[162:163]
	v_accvgpr_read_b32 v89, a13
	v_accvgpr_read_b32 v88, a12
	;; [unrolled: 3-line block ×4, first 2 shown]
	v_mul_f64 v[18:19], v[94:95], v[166:167]
	v_fmac_f64_e32 v[0:1], v[30:31], v[152:153]
	v_fmac_f64_e32 v[4:5], v[96:97], v[100:101]
	;; [unrolled: 1-line block ×6, first 2 shown]
	v_add_f64 v[8:9], v[0:1], -v[4:5]
	v_add_f64 v[2:3], v[10:11], -v[12:13]
	;; [unrolled: 1-line block ×5, first 2 shown]
	v_add_f64 v[2:3], v[2:3], v[20:21]
	v_add_f64 v[26:27], v[2:3], v[8:9]
	v_mul_f64 v[2:3], v[98:99], v[100:101]
	v_fma_f64 v[28:29], v[96:97], v[102:103], -v[2:3]
	v_mul_f64 v[2:3], v[32:33], v[152:153]
	v_fma_f64 v[30:31], v[30:31], v[154:155], -v[2:3]
	v_mul_f64 v[2:3], v[94:95], v[164:165]
	v_mul_f64 v[22:23], v[6:7], s[20:21]
	v_fma_f64 v[34:35], v[92:93], v[166:167], -v[2:3]
	v_mul_f64 v[2:3], v[38:39], v[148:149]
	v_mul_f64 v[6:7], v[90:91], v[156:157]
	v_fma_f64 v[36:37], v[36:37], v[150:151], -v[2:3]
	v_fma_f64 v[40:41], v[88:89], v[158:159], -v[6:7]
	v_mul_f64 v[6:7], v[44:45], v[160:161]
	v_add_f64 v[32:33], v[30:31], v[28:29]
	v_add_f64 v[38:39], v[36:37], v[34:35]
	v_fma_f64 v[42:43], v[42:43], v[162:163], -v[6:7]
	v_add_f64 v[92:93], v[0:1], v[4:5]
	v_add_f64 v[16:17], v[16:17], v[18:19]
	;; [unrolled: 1-line block ×10, first 2 shown]
	v_mov_b64_e32 v[46:47], v[2:3]
	v_mov_b64_e32 v[12:13], v[0:1]
	v_add_f64 v[20:21], v[20:21], -v[8:9]
	v_fmac_f64_e32 v[46:47], s[28:29], v[44:45]
	v_add_f64 v[44:45], v[32:33], -v[6:7]
	v_fmac_f64_e32 v[12:13], s[28:29], v[10:11]
	v_add_f64 v[10:11], v[92:93], -v[4:5]
	v_mul_f64 v[8:9], v[20:21], s[0:1]
	v_fma_f64 v[24:25], s[30:31], v[14:15], v[22:23]
	v_mul_f64 v[44:45], v[44:45], s[16:17]
	v_mul_f64 v[18:19], v[10:11], s[16:17]
	v_add_f64 v[4:5], v[4:5], -v[16:17]
	v_fma_f64 v[98:99], v[14:15], s[26:27], -v[8:9]
	v_add_f64 v[14:15], v[38:39], -v[32:33]
	v_mul_f64 v[94:95], v[4:5], s[18:19]
	v_fma_f64 v[4:5], s[18:19], v[4:5], v[18:19]
	v_add_f64 v[28:29], v[30:31], -v[28:29]
	v_add_f64 v[34:35], v[36:37], -v[34:35]
	v_fma_f64 v[8:9], v[14:15], s[22:23], -v[44:45]
	v_add_f64 v[16:17], v[16:17], -v[92:93]
	v_add_f64 v[6:7], v[6:7], -v[38:39]
	v_add_f64 v[96:97], v[4:5], v[12:13]
	v_add_f64 v[4:5], v[42:43], -v[40:41]
	v_add_f64 v[32:33], v[8:9], v[46:47]
	v_fma_f64 v[8:9], v[16:17], s[22:23], -v[18:19]
	v_add_f64 v[18:19], v[34:35], -v[28:29]
	v_mul_f64 v[88:89], v[6:7], s[18:19]
	v_add_f64 v[30:31], v[28:29], -v[4:5]
	v_add_f64 v[10:11], v[4:5], -v[34:35]
	v_add_f64 v[4:5], v[4:5], v[34:35]
	v_add_f64 v[38:39], v[8:9], v[12:13]
	v_mul_f64 v[8:9], v[18:19], s[0:1]
	v_mul_f64 v[36:37], v[10:11], s[20:21]
	v_add_f64 v[42:43], v[4:5], v[28:29]
	v_fma_f64 v[28:29], v[30:31], s[26:27], -v[8:9]
	v_fma_f64 v[14:15], v[14:15], s[6:7], -v[88:89]
	v_fma_f64 v[20:21], v[20:21], s[0:1], -v[22:23]
	v_fma_f64 v[40:41], s[30:31], v[30:31], v[36:37]
	v_fmac_f64_e32 v[28:29], s[24:25], v[42:43]
	v_add_f64 v[30:31], v[14:15], v[46:47]
	v_fmac_f64_e32 v[20:21], s[24:25], v[26:27]
	v_add_f64 v[8:9], v[38:39], -v[28:29]
	v_add_f64 v[14:15], v[30:31], -v[20:21]
	v_fma_f64 v[22:23], v[18:19], s[0:1], -v[36:37]
	v_add_f64 v[18:19], v[20:21], v[30:31]
	v_add_f64 v[20:21], v[28:29], v[38:39]
	v_mul_u32_u24_e32 v28, 0x5b, v242
	v_fma_f64 v[6:7], s[18:19], v[6:7], v[44:45]
	v_fma_f64 v[16:17], v[16:17], s[6:7], -v[94:95]
	v_add_u32_sdwa v28, v28, v243 dst_sel:DWORD dst_unused:UNUSED_PAD src0_sel:DWORD src1_sel:BYTE_0
	v_accvgpr_read_b32 v29, a3
	v_fmac_f64_e32 v[24:25], s[24:25], v[26:27]
	v_add_f64 v[90:91], v[6:7], v[46:47]
	v_fmac_f64_e32 v[40:41], s[24:25], v[42:43]
	v_fmac_f64_e32 v[98:99], s[24:25], v[26:27]
	v_add_f64 v[16:17], v[16:17], v[12:13]
	v_fmac_f64_e32 v[22:23], s[24:25], v[42:43]
	v_lshl_add_u32 v28, v28, 4, v29
	v_add_f64 v[6:7], v[24:25], v[90:91]
	v_add_f64 v[4:5], v[96:97], -v[40:41]
	v_add_f64 v[10:11], v[98:99], v[32:33]
	v_add_f64 v[12:13], v[22:23], v[16:17]
	v_add_f64 v[16:17], v[16:17], -v[22:23]
	v_add_f64 v[22:23], v[32:33], -v[98:99]
	;; [unrolled: 1-line block ×3, first 2 shown]
	v_add_f64 v[24:25], v[40:41], v[96:97]
	ds_write_b128 v28, v[0:3]
	ds_write_b128 v28, v[24:27] offset:208
	ds_write_b128 v28, v[20:23] offset:416
	;; [unrolled: 1-line block ×6, first 2 shown]
.LBB0_21:
	s_or_b64 exec, exec, s[34:35]
	s_waitcnt lgkmcnt(0)
	s_barrier
	ds_read_b128 v[4:7], v232
	ds_read_b128 v[0:3], v232 offset:1456
	ds_read_b128 v[8:11], v232 offset:2912
	;; [unrolled: 1-line block ×10, first 2 shown]
	s_waitcnt lgkmcnt(9)
	v_mul_f64 v[46:47], v[62:63], v[2:3]
	v_fmac_f64_e32 v[46:47], v[60:61], v[0:1]
	v_mul_f64 v[0:1], v[62:63], v[0:1]
	v_fma_f64 v[60:61], v[60:61], v[2:3], -v[0:1]
	s_waitcnt lgkmcnt(8)
	v_mul_f64 v[62:63], v[58:59], v[10:11]
	v_mul_f64 v[0:1], v[58:59], v[8:9]
	v_fmac_f64_e32 v[62:63], v[56:57], v[8:9]
	v_fma_f64 v[56:57], v[56:57], v[10:11], -v[0:1]
	s_waitcnt lgkmcnt(7)
	v_mul_f64 v[58:59], v[54:55], v[14:15]
	v_mul_f64 v[0:1], v[54:55], v[12:13]
	v_fmac_f64_e32 v[58:59], v[52:53], v[12:13]
	;; [unrolled: 5-line block ×3, first 2 shown]
	v_fma_f64 v[18:19], v[48:49], v[20:21], -v[0:1]
	s_waitcnt lgkmcnt(5)
	v_mul_f64 v[0:1], v[78:79], v[22:23]
	v_fma_f64 v[10:11], v[76:77], v[24:25], -v[0:1]
	s_waitcnt lgkmcnt(4)
	v_mul_f64 v[0:1], v[74:75], v[26:27]
	v_mul_f64 v[8:9], v[78:79], v[24:25]
	v_fma_f64 v[14:15], v[72:73], v[28:29], -v[0:1]
	s_waitcnt lgkmcnt(3)
	v_mul_f64 v[0:1], v[70:71], v[30:31]
	v_fmac_f64_e32 v[8:9], v[76:77], v[22:23]
	v_mul_f64 v[12:13], v[74:75], v[28:29]
	v_fma_f64 v[22:23], v[68:69], v[32:33], -v[0:1]
	s_waitcnt lgkmcnt(2)
	v_mul_f64 v[0:1], v[66:67], v[34:35]
	v_add_f64 v[2:3], v[6:7], v[60:61]
	v_fmac_f64_e32 v[12:13], v[72:73], v[26:27]
	v_mul_f64 v[20:21], v[70:71], v[32:33]
	v_fma_f64 v[26:27], v[64:65], v[36:37], -v[0:1]
	s_waitcnt lgkmcnt(1)
	v_mul_f64 v[0:1], v[86:87], v[38:39]
	v_add_f64 v[2:3], v[2:3], v[56:57]
	;; [unrolled: 6-line block ×3, first 2 shown]
	v_fmac_f64_e32 v[24:25], v[64:65], v[34:35]
	v_fma_f64 v[34:35], v[80:81], v[44:45], -v[0:1]
	v_add_f64 v[0:1], v[4:5], v[46:47]
	v_add_f64 v[2:3], v[2:3], v[18:19]
	;; [unrolled: 1-line block ×10, first 2 shown]
	v_mul_f64 v[28:29], v[86:87], v[40:41]
	v_mul_f64 v[32:33], v[82:83], v[44:45]
	v_add_f64 v[0:1], v[0:1], v[12:13]
	v_add_f64 v[2:3], v[2:3], v[30:31]
	s_mov_b32 s20, 0xf8bb580b
	s_mov_b32 s2, 0x8eee2c13
	s_mov_b32 s0, 0x43842ef
	s_mov_b32 s28, 0xbb3a28a1
	s_mov_b32 s36, 0xfd768dbf
	v_fmac_f64_e32 v[28:29], v[84:85], v[38:39]
	v_fmac_f64_e32 v[32:33], v[80:81], v[42:43]
	v_add_f64 v[0:1], v[0:1], v[20:21]
	v_add_f64 v[2:3], v[2:3], v[34:35]
	;; [unrolled: 1-line block ×3, first 2 shown]
	v_add_f64 v[34:35], v[60:61], -v[34:35]
	s_mov_b32 s21, 0xbfe14ced
	s_mov_b32 s22, 0x8764f0ba
	;; [unrolled: 1-line block ×10, first 2 shown]
	v_add_f64 v[0:1], v[0:1], v[24:25]
	v_add_f64 v[36:37], v[46:47], v[32:33]
	v_mul_f64 v[40:41], v[34:35], s[20:21]
	s_mov_b32 s23, 0x3feaeb8c
	v_mul_f64 v[48:49], v[34:35], s[2:3]
	s_mov_b32 s7, 0x3fda9628
	;; [unrolled: 2-line block ×5, first 2 shown]
	v_add_f64 v[0:1], v[0:1], v[28:29]
	v_fma_f64 v[42:43], s[22:23], v[36:37], v[40:41]
	v_fma_f64 v[40:41], v[36:37], s[22:23], -v[40:41]
	v_fma_f64 v[50:51], s[6:7], v[36:37], v[48:49]
	v_fma_f64 v[48:49], v[36:37], s[6:7], -v[48:49]
	;; [unrolled: 2-line block ×5, first 2 shown]
	v_add_f64 v[0:1], v[0:1], v[32:33]
	v_add_f64 v[32:33], v[46:47], -v[32:33]
	v_add_f64 v[42:43], v[4:5], v[42:43]
	v_mul_f64 v[44:45], v[38:39], s[22:23]
	s_mov_b32 s25, 0x3fe14ced
	s_mov_b32 s24, s20
	v_add_f64 v[40:41], v[4:5], v[40:41]
	v_add_f64 v[50:51], v[4:5], v[50:51]
	v_mul_f64 v[54:55], v[38:39], s[6:7]
	s_mov_b32 s17, 0x3fed1bb4
	s_mov_b32 s16, s2
	v_add_f64 v[48:49], v[4:5], v[48:49]
	;; [unrolled: 5-line block ×5, first 2 shown]
	v_add_f64 v[34:35], v[56:57], v[30:31]
	v_add_f64 v[30:31], v[56:57], -v[30:31]
	v_fma_f64 v[46:47], s[24:25], v[32:33], v[44:45]
	v_fmac_f64_e32 v[44:45], s[20:21], v[32:33]
	v_fma_f64 v[60:61], s[16:17], v[32:33], v[54:55]
	v_fmac_f64_e32 v[54:55], s[2:3], v[32:33]
	;; [unrolled: 2-line block ×5, first 2 shown]
	v_add_f64 v[32:33], v[62:63], v[28:29]
	v_mul_f64 v[36:37], v[30:31], s[2:3]
	v_add_f64 v[46:47], v[6:7], v[46:47]
	v_add_f64 v[44:45], v[6:7], v[44:45]
	;; [unrolled: 1-line block ×10, first 2 shown]
	v_fma_f64 v[38:39], s[6:7], v[32:33], v[36:37]
	v_add_f64 v[28:29], v[62:63], -v[28:29]
	v_add_f64 v[38:39], v[38:39], v[42:43]
	v_mul_f64 v[42:43], v[34:35], s[6:7]
	v_fma_f64 v[56:57], s[16:17], v[28:29], v[42:43]
	v_fma_f64 v[36:37], v[32:33], s[6:7], -v[36:37]
	v_fmac_f64_e32 v[42:43], s[2:3], v[28:29]
	v_add_f64 v[36:37], v[36:37], v[40:41]
	v_add_f64 v[40:41], v[42:43], v[44:45]
	v_mul_f64 v[42:43], v[30:31], s[28:29]
	v_fma_f64 v[44:45], s[30:31], v[32:33], v[42:43]
	v_add_f64 v[44:45], v[44:45], v[50:51]
	v_mul_f64 v[50:51], v[34:35], s[30:31]
	v_add_f64 v[46:47], v[56:57], v[46:47]
	v_fma_f64 v[56:57], s[34:35], v[28:29], v[50:51]
	v_fma_f64 v[42:43], v[32:33], s[30:31], -v[42:43]
	v_fmac_f64_e32 v[50:51], s[28:29], v[28:29]
	v_add_f64 v[42:43], v[42:43], v[48:49]
	v_add_f64 v[48:49], v[50:51], v[54:55]
	v_mul_f64 v[50:51], v[30:31], s[40:41]
	v_fma_f64 v[54:55], s[38:39], v[32:33], v[50:51]
	v_fma_f64 v[50:51], v[32:33], s[38:39], -v[50:51]
	v_add_f64 v[50:51], v[50:51], v[64:65]
	v_mul_f64 v[64:65], v[30:31], s[26:27]
	v_add_f64 v[56:57], v[56:57], v[60:61]
	v_add_f64 v[54:55], v[54:55], v[66:67]
	v_mul_f64 v[60:61], v[34:35], s[38:39]
	v_fma_f64 v[66:67], s[18:19], v[32:33], v[64:65]
	v_fma_f64 v[64:65], v[32:33], s[18:19], -v[64:65]
	v_mul_f64 v[30:31], v[30:31], s[24:25]
	v_fma_f64 v[62:63], s[36:37], v[28:29], v[60:61]
	v_fmac_f64_e32 v[60:61], s[40:41], v[28:29]
	v_add_f64 v[64:65], v[64:65], v[72:73]
	v_fma_f64 v[72:73], s[22:23], v[32:33], v[30:31]
	v_fma_f64 v[30:31], v[32:33], s[22:23], -v[30:31]
	v_add_f64 v[60:61], v[60:61], v[68:69]
	v_mul_f64 v[68:69], v[34:35], s[18:19]
	v_mul_f64 v[34:35], v[34:35], s[22:23]
	v_add_f64 v[4:5], v[30:31], v[4:5]
	v_add_f64 v[30:31], v[52:53], v[26:27]
	v_add_f64 v[26:27], v[52:53], -v[26:27]
	v_add_f64 v[62:63], v[62:63], v[70:71]
	v_add_f64 v[66:67], v[66:67], v[74:75]
	v_fma_f64 v[70:71], s[0:1], v[28:29], v[68:69]
	v_fmac_f64_e32 v[68:69], s[26:27], v[28:29]
	v_fma_f64 v[74:75], s[20:21], v[28:29], v[34:35]
	v_fmac_f64_e32 v[34:35], s[24:25], v[28:29]
	v_add_f64 v[28:29], v[58:59], v[24:25]
	v_mul_f64 v[32:33], v[26:27], s[0:1]
	v_add_f64 v[6:7], v[34:35], v[6:7]
	v_fma_f64 v[34:35], s[18:19], v[28:29], v[32:33]
	v_add_f64 v[24:25], v[58:59], -v[24:25]
	v_add_f64 v[34:35], v[34:35], v[38:39]
	v_mul_f64 v[38:39], v[30:31], s[18:19]
	v_fma_f64 v[52:53], s[26:27], v[24:25], v[38:39]
	v_fma_f64 v[32:33], v[28:29], s[18:19], -v[32:33]
	v_fmac_f64_e32 v[38:39], s[0:1], v[24:25]
	v_add_f64 v[32:33], v[32:33], v[36:37]
	v_add_f64 v[36:37], v[38:39], v[40:41]
	v_mul_f64 v[38:39], v[26:27], s[40:41]
	v_fma_f64 v[40:41], s[38:39], v[28:29], v[38:39]
	v_add_f64 v[40:41], v[40:41], v[44:45]
	v_mul_f64 v[44:45], v[30:31], s[38:39]
	v_add_f64 v[46:47], v[52:53], v[46:47]
	v_fma_f64 v[52:53], s[36:37], v[24:25], v[44:45]
	v_fma_f64 v[38:39], v[28:29], s[38:39], -v[38:39]
	v_fmac_f64_e32 v[44:45], s[40:41], v[24:25]
	v_add_f64 v[38:39], v[38:39], v[42:43]
	v_add_f64 v[42:43], v[44:45], v[48:49]
	v_mul_f64 v[44:45], v[26:27], s[16:17]
	v_fma_f64 v[48:49], s[6:7], v[28:29], v[44:45]
	v_add_f64 v[48:49], v[48:49], v[54:55]
	v_mul_f64 v[54:55], v[30:31], s[6:7]
	v_add_f64 v[52:53], v[52:53], v[56:57]
	v_fma_f64 v[56:57], s[2:3], v[24:25], v[54:55]
	v_fma_f64 v[44:45], v[28:29], s[6:7], -v[44:45]
	v_fmac_f64_e32 v[54:55], s[16:17], v[24:25]
	v_add_f64 v[44:45], v[44:45], v[50:51]
	v_add_f64 v[50:51], v[54:55], v[60:61]
	v_mul_f64 v[54:55], v[26:27], s[20:21]
	v_fma_f64 v[58:59], s[22:23], v[28:29], v[54:55]
	v_fma_f64 v[54:55], v[28:29], s[22:23], -v[54:55]
	v_mul_f64 v[26:27], v[26:27], s[28:29]
	v_add_f64 v[54:55], v[54:55], v[64:65]
	v_fma_f64 v[64:65], s[30:31], v[28:29], v[26:27]
	v_fma_f64 v[26:27], v[28:29], s[30:31], -v[26:27]
	v_mul_f64 v[60:61], v[30:31], s[22:23]
	v_mul_f64 v[30:31], v[30:31], s[30:31]
	v_add_f64 v[4:5], v[26:27], v[4:5]
	v_add_f64 v[26:27], v[18:19], v[22:23]
	v_add_f64 v[18:19], v[18:19], -v[22:23]
	v_add_f64 v[56:57], v[56:57], v[62:63]
	v_add_f64 v[58:59], v[58:59], v[66:67]
	v_fma_f64 v[62:63], s[24:25], v[24:25], v[60:61]
	v_fmac_f64_e32 v[60:61], s[20:21], v[24:25]
	v_fma_f64 v[66:67], s[34:35], v[24:25], v[30:31]
	v_fmac_f64_e32 v[30:31], s[28:29], v[24:25]
	v_add_f64 v[24:25], v[16:17], v[20:21]
	v_add_f64 v[16:17], v[16:17], -v[20:21]
	v_mul_f64 v[20:21], v[18:19], s[28:29]
	v_fma_f64 v[22:23], s[30:31], v[24:25], v[20:21]
	v_mul_f64 v[28:29], v[26:27], s[30:31]
	v_fma_f64 v[20:21], v[24:25], s[30:31], -v[20:21]
	v_add_f64 v[6:7], v[30:31], v[6:7]
	v_fma_f64 v[30:31], s[34:35], v[16:17], v[28:29]
	v_add_f64 v[20:21], v[20:21], v[32:33]
	v_fmac_f64_e32 v[28:29], s[28:29], v[16:17]
	v_mul_f64 v[32:33], v[18:19], s[26:27]
	v_add_f64 v[22:23], v[22:23], v[34:35]
	v_add_f64 v[28:29], v[28:29], v[36:37]
	v_fma_f64 v[34:35], s[18:19], v[24:25], v[32:33]
	v_mul_f64 v[36:37], v[26:27], s[18:19]
	v_fma_f64 v[32:33], v[24:25], s[18:19], -v[32:33]
	v_add_f64 v[34:35], v[34:35], v[40:41]
	v_fma_f64 v[40:41], s[0:1], v[16:17], v[36:37]
	v_add_f64 v[32:33], v[32:33], v[38:39]
	v_fmac_f64_e32 v[36:37], s[26:27], v[16:17]
	v_mul_f64 v[38:39], v[18:19], s[20:21]
	v_add_f64 v[30:31], v[30:31], v[46:47]
	v_add_f64 v[36:37], v[36:37], v[42:43]
	v_fma_f64 v[42:43], s[22:23], v[24:25], v[38:39]
	v_mul_f64 v[46:47], v[26:27], s[22:23]
	v_add_f64 v[42:43], v[42:43], v[48:49]
	v_fma_f64 v[48:49], s[24:25], v[16:17], v[46:47]
	v_fma_f64 v[38:39], v[24:25], s[22:23], -v[38:39]
	v_fmac_f64_e32 v[46:47], s[20:21], v[16:17]
	v_add_f64 v[38:39], v[38:39], v[44:45]
	v_add_f64 v[44:45], v[46:47], v[50:51]
	v_mul_f64 v[46:47], v[18:19], s[36:37]
	v_add_f64 v[70:71], v[70:71], v[78:79]
	v_add_f64 v[72:73], v[72:73], v[80:81]
	;; [unrolled: 1-line block ×4, first 2 shown]
	v_fma_f64 v[50:51], s[38:39], v[24:25], v[46:47]
	v_mul_f64 v[52:53], v[26:27], s[38:39]
	v_fma_f64 v[46:47], v[24:25], s[38:39], -v[46:47]
	v_mul_f64 v[18:19], v[18:19], s[16:17]
	v_mul_f64 v[26:27], v[26:27], s[6:7]
	v_add_f64 v[68:69], v[68:69], v[76:77]
	v_add_f64 v[62:63], v[62:63], v[70:71]
	;; [unrolled: 1-line block ×6, first 2 shown]
	v_fma_f64 v[54:55], s[6:7], v[24:25], v[18:19]
	v_fma_f64 v[58:59], s[2:3], v[16:17], v[26:27]
	v_add_f64 v[70:71], v[10:11], -v[14:15]
	v_add_f64 v[60:61], v[60:61], v[68:69]
	v_add_f64 v[48:49], v[48:49], v[56:57]
	v_fma_f64 v[56:57], s[40:41], v[16:17], v[52:53]
	v_fmac_f64_e32 v[52:53], s[36:37], v[16:17]
	v_add_f64 v[54:55], v[54:55], v[64:65]
	v_add_f64 v[58:59], v[58:59], v[66:67]
	v_fma_f64 v[18:19], v[24:25], s[6:7], -v[18:19]
	v_add_f64 v[64:65], v[8:9], v[12:13]
	v_add_f64 v[66:67], v[10:11], v[14:15]
	v_add_f64 v[68:69], v[8:9], -v[12:13]
	v_mul_f64 v[8:9], v[70:71], s[36:37]
	v_add_f64 v[52:53], v[52:53], v[60:61]
	v_add_f64 v[60:61], v[18:19], v[4:5]
	v_fmac_f64_e32 v[26:27], s[16:17], v[16:17]
	v_fma_f64 v[4:5], s[38:39], v[64:65], v[8:9]
	v_fma_f64 v[8:9], v[64:65], s[38:39], -v[8:9]
	v_mul_f64 v[16:17], v[70:71], s[24:25]
	v_mul_f64 v[18:19], v[66:67], s[22:23]
	;; [unrolled: 1-line block ×4, first 2 shown]
	v_add_f64 v[8:9], v[8:9], v[20:21]
	v_fma_f64 v[12:13], s[22:23], v[64:65], v[16:17]
	v_fma_f64 v[14:15], s[20:21], v[68:69], v[18:19]
	v_fma_f64 v[16:17], v[64:65], s[22:23], -v[16:17]
	v_fma_f64 v[20:21], s[30:31], v[64:65], v[24:25]
	v_add_f64 v[56:57], v[56:57], v[62:63]
	v_add_f64 v[62:63], v[26:27], v[6:7]
	v_fma_f64 v[6:7], s[40:41], v[68:69], v[10:11]
	v_fmac_f64_e32 v[10:11], s[36:37], v[68:69]
	v_add_f64 v[12:13], v[12:13], v[34:35]
	v_add_f64 v[14:15], v[14:15], v[40:41]
	;; [unrolled: 1-line block ×3, first 2 shown]
	v_fmac_f64_e32 v[18:19], s[24:25], v[68:69]
	v_add_f64 v[20:21], v[20:21], v[42:43]
	v_mul_f64 v[26:27], v[66:67], s[30:31]
	v_fma_f64 v[24:25], v[64:65], s[30:31], -v[24:25]
	v_mul_f64 v[32:33], v[70:71], s[16:17]
	v_mul_f64 v[34:35], v[66:67], s[6:7]
	v_mul_f64 v[40:41], v[70:71], s[0:1]
	v_mul_f64 v[42:43], v[66:67], s[18:19]
	v_add_f64 v[4:5], v[4:5], v[22:23]
	v_add_f64 v[6:7], v[6:7], v[30:31]
	;; [unrolled: 1-line block ×4, first 2 shown]
	v_fma_f64 v[22:23], s[34:35], v[68:69], v[26:27]
	v_add_f64 v[24:25], v[24:25], v[38:39]
	v_fmac_f64_e32 v[26:27], s[28:29], v[68:69]
	v_fma_f64 v[28:29], s[6:7], v[64:65], v[32:33]
	v_fma_f64 v[30:31], s[2:3], v[68:69], v[34:35]
	v_fma_f64 v[32:33], v[64:65], s[6:7], -v[32:33]
	v_fmac_f64_e32 v[34:35], s[16:17], v[68:69]
	v_fma_f64 v[36:37], s[18:19], v[64:65], v[40:41]
	v_fma_f64 v[38:39], s[26:27], v[68:69], v[42:43]
	v_fma_f64 v[40:41], v[64:65], s[18:19], -v[40:41]
	v_fmac_f64_e32 v[42:43], s[0:1], v[68:69]
	v_add_f64 v[22:23], v[22:23], v[48:49]
	v_add_f64 v[26:27], v[26:27], v[44:45]
	;; [unrolled: 1-line block ×10, first 2 shown]
	ds_write_b128 v233, v[0:3]
	ds_write_b128 v233, v[4:7] offset:1456
	ds_write_b128 v233, v[12:15] offset:2912
	ds_write_b128 v233, v[20:23] offset:4368
	ds_write_b128 v233, v[28:31] offset:5824
	ds_write_b128 v233, v[36:39] offset:7280
	ds_write_b128 v233, v[40:43] offset:8736
	ds_write_b128 v233, v[32:35] offset:10192
	ds_write_b128 v233, v[24:27] offset:11648
	ds_write_b128 v233, v[16:19] offset:13104
	ds_write_b128 v233, v[8:11] offset:14560
	s_waitcnt lgkmcnt(0)
	s_barrier
	s_and_b64 exec, exec, s[4:5]
	s_cbranch_execz .LBB0_23
; %bb.22:
	v_accvgpr_read_b32 v12, a2
	global_load_dwordx4 v[0:3], v12, s[14:15]
	global_load_dwordx4 v[4:7], v12, s[14:15] offset:1232
	global_load_dwordx4 v[8:11], v12, s[14:15] offset:2464
	;; [unrolled: 1-line block ×3, first 2 shown]
	v_mov_b32_e32 v13, 0
	s_movk_i32 s0, 0x1000
	v_lshl_add_u64 v[46:47], s[14:15], 0, v[12:13]
	v_add_co_u32_e32 v42, vcc, s0, v46
	v_accvgpr_read_b32 v50, a0
	s_nop 0
	v_addc_co_u32_e32 v43, vcc, 0, v47, vcc
	global_load_dwordx4 v[12:15], v[42:43], off offset:832
	ds_read_b128 v[26:29], v233
	ds_read_b128 v[30:33], v233 offset:1232
	global_load_dwordx4 v[20:23], v[42:43], off offset:2064
	v_mad_u64_u32 v[58:59], s[0:1], s10, v50, 0
	v_mad_u64_u32 v[60:61], s[2:3], s8, v245, 0
	s_movk_i32 s3, 0x2000
	v_mov_b32_e32 v44, v59
	ds_read_b128 v[34:37], v233 offset:2464
	ds_read_b128 v[38:41], v233 offset:3696
	v_mad_u64_u32 v[50:51], s[4:5], s11, v50, v[44:45]
	global_load_dwordx4 v[42:45], v[42:43], off offset:3296
	v_add_co_u32_e32 v62, vcc, s3, v46
	s_movk_i32 s6, 0x3000
	s_nop 0
	v_addc_co_u32_e32 v63, vcc, 0, v47, vcc
	v_mov_b32_e32 v48, v61
	v_add_co_u32_e32 v64, vcc, s6, v46
	v_mad_u64_u32 v[52:53], s[4:5], s9, v245, v[48:49]
	s_nop 0
	v_addc_co_u32_e32 v65, vcc, 0, v47, vcc
	global_load_dwordx4 v[46:49], v[62:63], off offset:432
	v_mov_b32_e32 v59, v50
	v_mov_b32_e32 v61, v52
	global_load_dwordx4 v[50:53], v[62:63], off offset:1664
	global_load_dwordx4 v[54:57], v[62:63], off offset:2896
	v_mov_b32_e32 v24, s12
	v_mov_b32_e32 v25, s13
	v_lshl_add_u64 v[24:25], v[58:59], 4, v[24:25]
	v_mov_b32_e32 v72, 0x4d0
	v_lshl_add_u64 v[58:59], v[60:61], 4, v[24:25]
	s_mov_b32 s0, 0x27a3ee9c
	s_mul_i32 s2, s9, 0x4d0
	v_mad_u64_u32 v[60:61], s[4:5], s8, v72, v[58:59]
	s_mov_b32 s1, 0x3f505e1d
	v_add_u32_e32 v61, s2, v61
	v_mad_u64_u32 v[62:63], s[4:5], s8, v72, v[60:61]
	v_add_u32_e32 v63, s2, v63
	s_waitcnt vmcnt(9) lgkmcnt(3)
	v_mul_f64 v[24:25], v[28:29], v[2:3]
	v_mul_f64 v[2:3], v[26:27], v[2:3]
	s_waitcnt vmcnt(8) lgkmcnt(2)
	v_mul_f64 v[66:67], v[32:33], v[6:7]
	s_waitcnt vmcnt(6) lgkmcnt(0)
	v_mul_f64 v[70:71], v[40:41], v[18:19]
	v_mul_f64 v[18:19], v[38:39], v[18:19]
	;; [unrolled: 1-line block ×5, first 2 shown]
	v_fmac_f64_e32 v[24:25], v[26:27], v[0:1]
	v_fma_f64 v[2:3], v[0:1], v[28:29], -v[2:3]
	v_fmac_f64_e32 v[70:71], v[38:39], v[16:17]
	v_fma_f64 v[26:27], v[16:17], v[40:41], -v[18:19]
	global_load_dwordx4 v[16:19], v[64:65], off offset:32
	v_fmac_f64_e32 v[66:67], v[30:31], v[4:5]
	v_fma_f64 v[6:7], v[4:5], v[32:33], -v[6:7]
	v_fmac_f64_e32 v[68:69], v[34:35], v[8:9]
	v_fma_f64 v[10:11], v[8:9], v[36:37], -v[10:11]
	v_mul_f64 v[0:1], v[24:25], s[0:1]
	v_mul_f64 v[2:3], v[2:3], s[0:1]
	;; [unrolled: 1-line block ×6, first 2 shown]
	global_store_dwordx4 v[58:59], v[0:3], off
	global_store_dwordx4 v[60:61], v[4:7], off
	;; [unrolled: 1-line block ×3, first 2 shown]
	global_load_dwordx4 v[4:7], v[64:65], off offset:1264
	ds_read_b128 v[0:3], v233 offset:4928
	ds_read_b128 v[8:11], v233 offset:6160
	v_mad_u64_u32 v[28:29], s[4:5], s8, v72, v[62:63]
	v_mul_f64 v[24:25], v[70:71], s[0:1]
	v_mul_f64 v[26:27], v[26:27], s[0:1]
	v_add_u32_e32 v29, s2, v29
	global_store_dwordx4 v[28:29], v[24:27], off
	s_waitcnt vmcnt(11) lgkmcnt(1)
	s_nop 0
	v_mul_f64 v[24:25], v[2:3], v[14:15]
	v_fmac_f64_e32 v[24:25], v[0:1], v[12:13]
	v_mul_f64 v[0:1], v[0:1], v[14:15]
	v_fma_f64 v[0:1], v[12:13], v[2:3], -v[0:1]
	v_mul_f64 v[26:27], v[0:1], s[0:1]
	v_mad_u64_u32 v[12:13], s[4:5], s8, v72, v[28:29]
	s_waitcnt vmcnt(10) lgkmcnt(0)
	v_mul_f64 v[0:1], v[10:11], v[22:23]
	v_mul_f64 v[2:3], v[8:9], v[22:23]
	v_add_u32_e32 v13, s2, v13
	v_fmac_f64_e32 v[0:1], v[8:9], v[20:21]
	v_fma_f64 v[2:3], v[20:21], v[10:11], -v[2:3]
	ds_read_b128 v[8:11], v233 offset:7392
	v_mad_u64_u32 v[20:21], s[4:5], s8, v72, v[12:13]
	v_mul_f64 v[24:25], v[24:25], s[0:1]
	v_mul_f64 v[0:1], v[0:1], s[0:1]
	;; [unrolled: 1-line block ×3, first 2 shown]
	v_add_u32_e32 v21, s2, v21
	global_store_dwordx4 v[12:13], v[24:27], off
	global_store_dwordx4 v[20:21], v[0:3], off
	ds_read_b128 v[0:3], v233 offset:8624
	s_waitcnt vmcnt(11) lgkmcnt(1)
	v_mul_f64 v[12:13], v[10:11], v[44:45]
	v_fmac_f64_e32 v[12:13], v[8:9], v[42:43]
	v_mul_f64 v[8:9], v[8:9], v[44:45]
	v_fma_f64 v[8:9], v[42:43], v[10:11], -v[8:9]
	v_mul_f64 v[14:15], v[8:9], s[0:1]
	s_waitcnt vmcnt(10) lgkmcnt(0)
	v_mul_f64 v[8:9], v[2:3], v[48:49]
	v_fmac_f64_e32 v[8:9], v[0:1], v[46:47]
	v_mul_f64 v[0:1], v[0:1], v[48:49]
	v_mad_u64_u32 v[20:21], s[4:5], s8, v72, v[20:21]
	v_fma_f64 v[0:1], v[46:47], v[2:3], -v[0:1]
	v_mul_f64 v[12:13], v[12:13], s[0:1]
	v_add_u32_e32 v21, s2, v21
	v_mul_f64 v[10:11], v[0:1], s[0:1]
	ds_read_b128 v[0:3], v233 offset:9856
	global_store_dwordx4 v[20:21], v[12:15], off
	v_mad_u64_u32 v[20:21], s[4:5], s8, v72, v[20:21]
	v_mul_f64 v[8:9], v[8:9], s[0:1]
	v_add_u32_e32 v21, s2, v21
	global_store_dwordx4 v[20:21], v[8:11], off
	ds_read_b128 v[8:11], v233 offset:11088
	s_waitcnt vmcnt(11) lgkmcnt(1)
	v_mul_f64 v[12:13], v[2:3], v[52:53]
	v_fmac_f64_e32 v[12:13], v[0:1], v[50:51]
	v_mul_f64 v[0:1], v[0:1], v[52:53]
	v_fma_f64 v[0:1], v[50:51], v[2:3], -v[0:1]
	v_mul_f64 v[14:15], v[0:1], s[0:1]
	v_mad_u64_u32 v[20:21], s[4:5], s8, v72, v[20:21]
	s_waitcnt vmcnt(10) lgkmcnt(0)
	v_mul_f64 v[0:1], v[10:11], v[56:57]
	v_mul_f64 v[2:3], v[8:9], v[56:57]
	;; [unrolled: 1-line block ×3, first 2 shown]
	v_add_u32_e32 v21, s2, v21
	v_fmac_f64_e32 v[0:1], v[8:9], v[54:55]
	v_fma_f64 v[2:3], v[54:55], v[10:11], -v[2:3]
	ds_read_b128 v[8:11], v233 offset:12320
	global_store_dwordx4 v[20:21], v[12:15], off
	v_mad_u64_u32 v[20:21], s[4:5], s8, v72, v[20:21]
	v_mul_f64 v[0:1], v[0:1], s[0:1]
	v_mul_f64 v[2:3], v[2:3], s[0:1]
	v_add_u32_e32 v21, s2, v21
	global_store_dwordx4 v[20:21], v[0:3], off
	ds_read_b128 v[0:3], v233 offset:13552
	s_waitcnt vmcnt(11) lgkmcnt(1)
	v_mul_f64 v[12:13], v[10:11], v[18:19]
	v_fmac_f64_e32 v[12:13], v[8:9], v[16:17]
	v_mul_f64 v[8:9], v[8:9], v[18:19]
	v_fma_f64 v[8:9], v[16:17], v[10:11], -v[8:9]
	v_mul_f64 v[14:15], v[8:9], s[0:1]
	v_mad_u64_u32 v[16:17], s[4:5], s8, v72, v[20:21]
	s_waitcnt vmcnt(7) lgkmcnt(0)
	v_mul_f64 v[8:9], v[2:3], v[6:7]
	v_mul_f64 v[12:13], v[12:13], s[0:1]
	v_add_u32_e32 v17, s2, v17
	v_fmac_f64_e32 v[8:9], v[0:1], v[4:5]
	v_mul_f64 v[0:1], v[0:1], v[6:7]
	global_store_dwordx4 v[16:17], v[12:15], off
	v_fma_f64 v[0:1], v[4:5], v[2:3], -v[0:1]
	v_mul_f64 v[8:9], v[8:9], s[0:1]
	v_mad_u64_u32 v[12:13], s[4:5], s8, v72, v[16:17]
	v_mul_f64 v[10:11], v[0:1], s[0:1]
	v_add_u32_e32 v13, s2, v13
	global_store_dwordx4 v[12:13], v[8:11], off
	global_load_dwordx4 v[0:3], v[64:65], off offset:2496
	ds_read_b128 v[4:7], v233 offset:14784
	s_waitcnt vmcnt(0) lgkmcnt(0)
	v_mul_f64 v[8:9], v[6:7], v[2:3]
	v_mul_f64 v[2:3], v[4:5], v[2:3]
	v_fmac_f64_e32 v[8:9], v[4:5], v[0:1]
	v_fma_f64 v[0:1], v[0:1], v[6:7], -v[2:3]
	v_mul_f64 v[8:9], v[8:9], s[0:1]
	v_mul_f64 v[10:11], v[0:1], s[0:1]
	v_mad_u64_u32 v[0:1], s[0:1], s8, v72, v[12:13]
	v_add_u32_e32 v1, s2, v1
	global_store_dwordx4 v[0:1], v[8:11], off
.LBB0_23:
	s_endpgm
	.section	.rodata,"a",@progbits
	.p2align	6, 0x0
	.amdhsa_kernel bluestein_single_fwd_len1001_dim1_dp_op_CI_CI
		.amdhsa_group_segment_fixed_size 32032
		.amdhsa_private_segment_fixed_size 0
		.amdhsa_kernarg_size 104
		.amdhsa_user_sgpr_count 2
		.amdhsa_user_sgpr_dispatch_ptr 0
		.amdhsa_user_sgpr_queue_ptr 0
		.amdhsa_user_sgpr_kernarg_segment_ptr 1
		.amdhsa_user_sgpr_dispatch_id 0
		.amdhsa_user_sgpr_kernarg_preload_length 0
		.amdhsa_user_sgpr_kernarg_preload_offset 0
		.amdhsa_user_sgpr_private_segment_size 0
		.amdhsa_uses_dynamic_stack 0
		.amdhsa_enable_private_segment 0
		.amdhsa_system_sgpr_workgroup_id_x 1
		.amdhsa_system_sgpr_workgroup_id_y 0
		.amdhsa_system_sgpr_workgroup_id_z 0
		.amdhsa_system_sgpr_workgroup_info 0
		.amdhsa_system_vgpr_workitem_id 0
		.amdhsa_next_free_vgpr 358
		.amdhsa_next_free_sgpr 52
		.amdhsa_accum_offset 256
		.amdhsa_reserve_vcc 1
		.amdhsa_float_round_mode_32 0
		.amdhsa_float_round_mode_16_64 0
		.amdhsa_float_denorm_mode_32 3
		.amdhsa_float_denorm_mode_16_64 3
		.amdhsa_dx10_clamp 1
		.amdhsa_ieee_mode 1
		.amdhsa_fp16_overflow 0
		.amdhsa_tg_split 0
		.amdhsa_exception_fp_ieee_invalid_op 0
		.amdhsa_exception_fp_denorm_src 0
		.amdhsa_exception_fp_ieee_div_zero 0
		.amdhsa_exception_fp_ieee_overflow 0
		.amdhsa_exception_fp_ieee_underflow 0
		.amdhsa_exception_fp_ieee_inexact 0
		.amdhsa_exception_int_div_zero 0
	.end_amdhsa_kernel
	.text
.Lfunc_end0:
	.size	bluestein_single_fwd_len1001_dim1_dp_op_CI_CI, .Lfunc_end0-bluestein_single_fwd_len1001_dim1_dp_op_CI_CI
                                        ; -- End function
	.section	.AMDGPU.csdata,"",@progbits
; Kernel info:
; codeLenInByte = 23968
; NumSgprs: 58
; NumVgprs: 256
; NumAgprs: 102
; TotalNumVgprs: 358
; ScratchSize: 0
; MemoryBound: 0
; FloatMode: 240
; IeeeMode: 1
; LDSByteSize: 32032 bytes/workgroup (compile time only)
; SGPRBlocks: 7
; VGPRBlocks: 44
; NumSGPRsForWavesPerEU: 58
; NumVGPRsForWavesPerEU: 358
; AccumOffset: 256
; Occupancy: 1
; WaveLimiterHint : 1
; COMPUTE_PGM_RSRC2:SCRATCH_EN: 0
; COMPUTE_PGM_RSRC2:USER_SGPR: 2
; COMPUTE_PGM_RSRC2:TRAP_HANDLER: 0
; COMPUTE_PGM_RSRC2:TGID_X_EN: 1
; COMPUTE_PGM_RSRC2:TGID_Y_EN: 0
; COMPUTE_PGM_RSRC2:TGID_Z_EN: 0
; COMPUTE_PGM_RSRC2:TIDIG_COMP_CNT: 0
; COMPUTE_PGM_RSRC3_GFX90A:ACCUM_OFFSET: 63
; COMPUTE_PGM_RSRC3_GFX90A:TG_SPLIT: 0
	.text
	.p2alignl 6, 3212836864
	.fill 256, 4, 3212836864
	.type	__hip_cuid_99fea1c99efc8080,@object ; @__hip_cuid_99fea1c99efc8080
	.section	.bss,"aw",@nobits
	.globl	__hip_cuid_99fea1c99efc8080
__hip_cuid_99fea1c99efc8080:
	.byte	0                               ; 0x0
	.size	__hip_cuid_99fea1c99efc8080, 1

	.ident	"AMD clang version 19.0.0git (https://github.com/RadeonOpenCompute/llvm-project roc-6.4.0 25133 c7fe45cf4b819c5991fe208aaa96edf142730f1d)"
	.section	".note.GNU-stack","",@progbits
	.addrsig
	.addrsig_sym __hip_cuid_99fea1c99efc8080
	.amdgpu_metadata
---
amdhsa.kernels:
  - .agpr_count:     102
    .args:
      - .actual_access:  read_only
        .address_space:  global
        .offset:         0
        .size:           8
        .value_kind:     global_buffer
      - .actual_access:  read_only
        .address_space:  global
        .offset:         8
        .size:           8
        .value_kind:     global_buffer
      - .actual_access:  read_only
        .address_space:  global
        .offset:         16
        .size:           8
        .value_kind:     global_buffer
      - .actual_access:  read_only
        .address_space:  global
        .offset:         24
        .size:           8
        .value_kind:     global_buffer
      - .actual_access:  read_only
        .address_space:  global
        .offset:         32
        .size:           8
        .value_kind:     global_buffer
      - .offset:         40
        .size:           8
        .value_kind:     by_value
      - .address_space:  global
        .offset:         48
        .size:           8
        .value_kind:     global_buffer
      - .address_space:  global
        .offset:         56
        .size:           8
        .value_kind:     global_buffer
      - .address_space:  global
        .offset:         64
        .size:           8
        .value_kind:     global_buffer
      - .address_space:  global
        .offset:         72
        .size:           8
        .value_kind:     global_buffer
      - .offset:         80
        .size:           4
        .value_kind:     by_value
      - .address_space:  global
        .offset:         88
        .size:           8
        .value_kind:     global_buffer
      - .address_space:  global
        .offset:         96
        .size:           8
        .value_kind:     global_buffer
    .group_segment_fixed_size: 32032
    .kernarg_segment_align: 8
    .kernarg_segment_size: 104
    .language:       OpenCL C
    .language_version:
      - 2
      - 0
    .max_flat_workgroup_size: 182
    .name:           bluestein_single_fwd_len1001_dim1_dp_op_CI_CI
    .private_segment_fixed_size: 0
    .sgpr_count:     58
    .sgpr_spill_count: 0
    .symbol:         bluestein_single_fwd_len1001_dim1_dp_op_CI_CI.kd
    .uniform_work_group_size: 1
    .uses_dynamic_stack: false
    .vgpr_count:     358
    .vgpr_spill_count: 0
    .wavefront_size: 64
amdhsa.target:   amdgcn-amd-amdhsa--gfx950
amdhsa.version:
  - 1
  - 2
...

	.end_amdgpu_metadata
